;; amdgpu-corpus repo=ROCm/rocFFT kind=compiled arch=gfx1100 opt=O3
	.text
	.amdgcn_target "amdgcn-amd-amdhsa--gfx1100"
	.amdhsa_code_object_version 6
	.protected	bluestein_single_fwd_len1547_dim1_sp_op_CI_CI ; -- Begin function bluestein_single_fwd_len1547_dim1_sp_op_CI_CI
	.globl	bluestein_single_fwd_len1547_dim1_sp_op_CI_CI
	.p2align	8
	.type	bluestein_single_fwd_len1547_dim1_sp_op_CI_CI,@function
bluestein_single_fwd_len1547_dim1_sp_op_CI_CI: ; @bluestein_single_fwd_len1547_dim1_sp_op_CI_CI
; %bb.0:
	s_load_b128 s[4:7], s[0:1], 0x28
	v_mul_u32_u24_e32 v1, 0x227, v0
	s_mov_b32 s2, exec_lo
	v_mov_b32_e32 v93, 0
	s_delay_alu instid0(VALU_DEP_2) | instskip(NEXT) | instid1(VALU_DEP_1)
	v_lshrrev_b32_e32 v1, 16, v1
	v_add_nc_u32_e32 v92, s15, v1
	s_waitcnt lgkmcnt(0)
	s_delay_alu instid0(VALU_DEP_1)
	v_cmpx_gt_u64_e64 s[4:5], v[92:93]
	s_cbranch_execz .LBB0_23
; %bb.1:
	s_clause 0x1
	s_load_b64 s[12:13], s[0:1], 0x0
	s_load_b64 s[14:15], s[0:1], 0x38
	v_mul_lo_u16 v1, 0x77, v1
	s_delay_alu instid0(VALU_DEP_1) | instskip(NEXT) | instid1(VALU_DEP_1)
	v_sub_nc_u16 v0, v0, v1
	v_and_b32_e32 v102, 0xffff, v0
	v_cmp_gt_u16_e32 vcc_lo, 0x5b, v0
	s_delay_alu instid0(VALU_DEP_2)
	v_lshlrev_b32_e32 v101, 3, v102
	s_and_saveexec_b32 s3, vcc_lo
	s_cbranch_execz .LBB0_3
; %bb.2:
	s_load_b64 s[4:5], s[0:1], 0x18
	s_waitcnt lgkmcnt(0)
	v_add_co_u32 v20, s2, s12, v101
	s_delay_alu instid0(VALU_DEP_1) | instskip(SKIP_1) | instid1(VALU_DEP_3)
	v_add_co_ci_u32_e64 v21, null, s13, 0, s2
	v_add_nc_u32_e32 v70, 0x800, v101
	v_add_co_u32 v18, s2, 0x1000, v20
	s_delay_alu instid0(VALU_DEP_1) | instskip(SKIP_1) | instid1(VALU_DEP_1)
	v_add_co_ci_u32_e64 v19, s2, 0, v21, s2
	v_add_co_u32 v20, s2, 0x2000, v20
	v_add_co_ci_u32_e64 v21, s2, 0, v21, s2
	v_add_nc_u32_e32 v72, 0x1400, v101
	s_load_b128 s[8:11], s[4:5], 0x0
	s_waitcnt lgkmcnt(0)
	v_mad_u64_u32 v[0:1], null, s10, v92, 0
	v_mad_u64_u32 v[2:3], null, s8, v102, 0
	s_mul_i32 s4, s9, 0x2d8
	s_mul_hi_u32 s5, s8, 0x2d8
	s_delay_alu instid0(SALU_CYCLE_1) | instskip(NEXT) | instid1(VALU_DEP_1)
	s_add_i32 s5, s5, s4
	v_mad_u64_u32 v[4:5], null, s11, v92, v[1:2]
	s_clause 0x3
	global_load_b64 v[5:6], v101, s[12:13]
	global_load_b64 v[7:8], v101, s[12:13] offset:728
	global_load_b64 v[9:10], v101, s[12:13] offset:1456
	;; [unrolled: 1-line block ×3, first 2 shown]
	v_mad_u64_u32 v[13:14], null, s9, v102, v[3:4]
	v_mov_b32_e32 v1, v4
	s_clause 0xa
	global_load_b64 v[14:15], v101, s[12:13] offset:2912
	global_load_b64 v[16:17], v101, s[12:13] offset:3640
	global_load_b64 v[22:23], v[18:19], off offset:272
	global_load_b64 v[24:25], v[18:19], off offset:1000
	;; [unrolled: 1-line block ×9, first 2 shown]
	v_lshlrev_b64 v[0:1], 3, v[0:1]
	v_mov_b32_e32 v3, v13
	s_delay_alu instid0(VALU_DEP_2) | instskip(NEXT) | instid1(VALU_DEP_2)
	v_add_co_u32 v0, s2, s6, v0
	v_lshlrev_b64 v[2:3], 3, v[2:3]
	s_delay_alu instid0(VALU_DEP_4) | instskip(SKIP_1) | instid1(VALU_DEP_2)
	v_add_co_ci_u32_e64 v1, s2, s7, v1, s2
	s_mul_i32 s6, s8, 0x2d8
	v_add_co_u32 v0, s2, v0, v2
	s_delay_alu instid0(VALU_DEP_1) | instskip(NEXT) | instid1(VALU_DEP_2)
	v_add_co_ci_u32_e64 v1, s2, v1, v3, s2
	v_add_co_u32 v2, s2, v0, s6
	s_delay_alu instid0(VALU_DEP_1) | instskip(NEXT) | instid1(VALU_DEP_2)
	v_add_co_ci_u32_e64 v3, s2, s5, v1, s2
	;; [unrolled: 3-line block ×4, first 2 shown]
	v_add_co_u32 v42, s2, v34, s6
	s_delay_alu instid0(VALU_DEP_1)
	v_add_co_ci_u32_e64 v43, s2, s5, v35, s2
	s_clause 0x3
	global_load_b64 v[0:1], v[0:1], off
	global_load_b64 v[2:3], v[2:3], off
	;; [unrolled: 1-line block ×4, first 2 shown]
	v_add_co_u32 v44, s2, v42, s6
	s_delay_alu instid0(VALU_DEP_1) | instskip(SKIP_2) | instid1(VALU_DEP_1)
	v_add_co_ci_u32_e64 v45, s2, s5, v43, s2
	global_load_b64 v[42:43], v[42:43], off
	v_add_co_u32 v46, s2, v44, s6
	v_add_co_ci_u32_e64 v47, s2, s5, v45, s2
	global_load_b64 v[44:45], v[44:45], off
	v_add_co_u32 v48, s2, v46, s6
	s_delay_alu instid0(VALU_DEP_1) | instskip(SKIP_2) | instid1(VALU_DEP_1)
	v_add_co_ci_u32_e64 v49, s2, s5, v47, s2
	global_load_b64 v[46:47], v[46:47], off
	v_add_co_u32 v50, s2, v48, s6
	v_add_co_ci_u32_e64 v51, s2, s5, v49, s2
	global_load_b64 v[48:49], v[48:49], off
	v_add_co_u32 v52, s2, v50, s6
	s_delay_alu instid0(VALU_DEP_1) | instskip(SKIP_2) | instid1(VALU_DEP_1)
	v_add_co_ci_u32_e64 v53, s2, s5, v51, s2
	global_load_b64 v[50:51], v[50:51], off
	v_add_co_u32 v54, s2, v52, s6
	v_add_co_ci_u32_e64 v55, s2, s5, v53, s2
	global_load_b64 v[52:53], v[52:53], off
	v_add_co_u32 v56, s2, v54, s6
	s_delay_alu instid0(VALU_DEP_1) | instskip(SKIP_2) | instid1(VALU_DEP_1)
	v_add_co_ci_u32_e64 v57, s2, s5, v55, s2
	global_load_b64 v[54:55], v[54:55], off
	v_add_co_u32 v58, s2, v56, s6
	v_add_co_ci_u32_e64 v59, s2, s5, v57, s2
	global_load_b64 v[56:57], v[56:57], off
	v_add_co_u32 v60, s2, v58, s6
	s_delay_alu instid0(VALU_DEP_1) | instskip(SKIP_2) | instid1(VALU_DEP_1)
	v_add_co_ci_u32_e64 v61, s2, s5, v59, s2
	global_load_b64 v[58:59], v[58:59], off
	v_add_co_u32 v62, s2, v60, s6
	v_add_co_ci_u32_e64 v63, s2, s5, v61, s2
	global_load_b64 v[60:61], v[60:61], off
	v_add_co_u32 v64, s2, v62, s6
	s_delay_alu instid0(VALU_DEP_1) | instskip(SKIP_2) | instid1(VALU_DEP_1)
	v_add_co_ci_u32_e64 v65, s2, s5, v63, s2
	global_load_b64 v[62:63], v[62:63], off
	v_add_co_u32 v66, s2, v64, s6
	v_add_co_ci_u32_e64 v67, s2, s5, v65, s2
	global_load_b64 v[68:69], v[20:21], off offset:2728
	global_load_b64 v[64:65], v[64:65], off
	global_load_b64 v[20:21], v[20:21], off offset:3456
	global_load_b64 v[66:67], v[66:67], off
	v_add_nc_u32_e32 v13, 0x400, v101
	v_add_nc_u32_e32 v71, 0x1000, v101
	;; [unrolled: 1-line block ×4, first 2 shown]
	s_waitcnt vmcnt(18)
	v_mul_f32_e32 v4, v1, v6
	v_mul_f32_e32 v74, v0, v6
	s_waitcnt vmcnt(17)
	v_dual_mul_f32 v6, v3, v8 :: v_dual_add_nc_u32 v75, 0x2000, v101
	s_delay_alu instid0(VALU_DEP_3) | instskip(NEXT) | instid1(VALU_DEP_3)
	v_fmac_f32_e32 v4, v0, v5
	v_fma_f32 v5, v1, v5, -v74
	v_mul_f32_e32 v1, v2, v8
	s_delay_alu instid0(VALU_DEP_4)
	v_fmac_f32_e32 v6, v2, v7
	s_waitcnt vmcnt(16)
	v_mul_f32_e32 v0, v31, v10
	v_mul_f32_e32 v8, v30, v10
	s_waitcnt vmcnt(15)
	v_mul_f32_e32 v2, v35, v12
	v_mul_f32_e32 v10, v34, v12
	v_fma_f32 v7, v3, v7, -v1
	v_fmac_f32_e32 v0, v30, v9
	v_fma_f32 v1, v31, v9, -v8
	v_fmac_f32_e32 v2, v34, v11
	v_fma_f32 v3, v35, v11, -v10
	s_waitcnt vmcnt(14)
	v_mul_f32_e32 v8, v43, v15
	v_mul_f32_e32 v9, v42, v15
	ds_store_2addr_b64 v101, v[4:5], v[6:7] offset1:91
	s_waitcnt vmcnt(13)
	v_mul_f32_e32 v4, v45, v17
	s_waitcnt vmcnt(11)
	v_mul_f32_e32 v6, v48, v25
	v_fma_f32 v9, v43, v14, -v9
	s_waitcnt vmcnt(10)
	v_dual_mul_f32 v7, v50, v27 :: v_dual_fmac_f32 v4, v44, v16
	s_delay_alu instid0(VALU_DEP_1)
	v_fma_f32 v7, v51, v26, -v7
	s_waitcnt vmcnt(5)
	v_mul_f32_e32 v11, v60, v39
	v_mul_f32_e32 v10, v61, v39
	s_waitcnt vmcnt(4)
	v_mul_f32_e32 v12, v63, v41
	s_delay_alu instid0(VALU_DEP_2)
	v_fmac_f32_e32 v10, v60, v38
	v_fma_f32 v11, v61, v38, -v11
	s_waitcnt vmcnt(2)
	v_mul_f32_e32 v15, v64, v69
	ds_store_2addr_b64 v13, v[0:1], v[2:3] offset0:54 offset1:145
	v_dual_mul_f32 v1, v44, v17 :: v_dual_mul_f32 v0, v47, v23
	v_mul_f32_e32 v13, v62, v41
	v_dual_mul_f32 v3, v46, v23 :: v_dual_mul_f32 v2, v49, v25
	s_delay_alu instid0(VALU_DEP_3) | instskip(NEXT) | instid1(VALU_DEP_4)
	v_fma_f32 v5, v45, v16, -v1
	v_fmac_f32_e32 v0, v46, v22
	s_waitcnt vmcnt(0)
	v_mul_f32_e32 v17, v66, v21
	v_fma_f32 v1, v47, v22, -v3
	v_fmac_f32_e32 v2, v48, v24
	v_fma_f32 v3, v49, v24, -v6
	v_mul_f32_e32 v6, v51, v27
	v_mul_f32_e32 v16, v67, v21
	v_fmac_f32_e32 v12, v62, v40
	v_fma_f32 v13, v63, v40, -v13
	ds_store_2addr_b64 v71, v[0:1], v[2:3] offset0:34 offset1:125
	v_mul_f32_e32 v3, v54, v33
	v_dual_fmac_f32 v8, v42, v14 :: v_dual_mul_f32 v1, v52, v29
	v_mul_f32_e32 v0, v55, v33
	v_mul_f32_e32 v2, v57, v19
	;; [unrolled: 1-line block ×3, first 2 shown]
	ds_store_2addr_b64 v70, v[8:9], v[4:5] offset0:108 offset1:199
	v_dual_mul_f32 v9, v56, v19 :: v_dual_mul_f32 v4, v53, v29
	v_fma_f32 v5, v53, v28, -v1
	v_fma_f32 v1, v55, v32, -v3
	v_mul_f32_e32 v8, v59, v37
	s_delay_alu instid0(VALU_DEP_4)
	v_fma_f32 v3, v57, v18, -v9
	v_mul_f32_e32 v9, v58, v37
	v_fmac_f32_e32 v6, v50, v26
	v_fmac_f32_e32 v4, v52, v28
	;; [unrolled: 1-line block ×5, first 2 shown]
	v_fma_f32 v9, v59, v36, -v9
	v_fmac_f32_e32 v14, v64, v68
	v_fma_f32 v15, v65, v68, -v15
	v_fmac_f32_e32 v16, v66, v20
	v_fma_f32 v17, v67, v20, -v17
	ds_store_2addr_b64 v72, v[6:7], v[4:5] offset0:88 offset1:179
	ds_store_2addr_b64 v73, v[0:1], v[2:3] offset0:142 offset1:233
	;; [unrolled: 1-line block ×4, first 2 shown]
	ds_store_b64 v101, v[16:17] offset:11648
.LBB0_3:
	s_or_b32 exec_lo, exec_lo, s3
	v_mov_b32_e32 v4, 0
	v_mov_b32_e32 v5, 0
	s_waitcnt lgkmcnt(0)
	s_barrier
	buffer_gl0_inv
                                        ; implicit-def: $vgpr16
                                        ; implicit-def: $vgpr12
                                        ; implicit-def: $vgpr8
                                        ; implicit-def: $vgpr36
                                        ; implicit-def: $vgpr26
                                        ; implicit-def: $vgpr34
                                        ; implicit-def: $vgpr22
                                        ; implicit-def: $vgpr30
	s_and_saveexec_b32 s2, vcc_lo
	s_cbranch_execz .LBB0_5
; %bb.4:
	v_add_nc_u32_e32 v0, 0x400, v101
	v_add_nc_u32_e32 v1, 0x800, v101
	;; [unrolled: 1-line block ×3, first 2 shown]
	ds_load_2addr_b64 v[4:7], v101 offset1:91
	v_add_nc_u32_e32 v3, 0x2000, v101
	ds_load_2addr_b64 v[28:31], v0 offset0:54 offset1:145
	ds_load_2addr_b64 v[20:23], v1 offset0:108 offset1:199
	v_add_nc_u32_e32 v0, 0x1400, v101
	v_add_nc_u32_e32 v1, 0x1800, v101
	;; [unrolled: 1-line block ×3, first 2 shown]
	ds_load_2addr_b64 v[32:35], v2 offset0:34 offset1:125
	ds_load_2addr_b64 v[24:27], v0 offset0:88 offset1:179
	;; [unrolled: 1-line block ×5, first 2 shown]
	ds_load_b64 v[36:37], v101 offset:11648
.LBB0_5:
	s_or_b32 exec_lo, exec_lo, s2
	s_waitcnt lgkmcnt(0)
	v_dual_sub_f32 v45, v7, v37 :: v_dual_sub_f32 v48, v6, v36
	v_dual_add_f32 v96, v36, v6 :: v_dual_add_f32 v97, v37, v7
	v_dual_sub_f32 v156, v33, v19 :: v_dual_add_f32 v133, v16, v34
	s_delay_alu instid0(VALU_DEP_3) | instskip(SKIP_3) | instid1(VALU_DEP_4)
	v_dual_mul_f32 v56, 0xbf2c7751, v45 :: v_dual_mul_f32 v57, 0xbf2c7751, v48
	v_dual_mul_f32 v60, 0xbf65296c, v45 :: v_dual_sub_f32 v49, v28, v10
	v_mul_f32_e32 v68, 0xbf7ee86f, v48
	v_sub_f32_e32 v50, v29, v11
	v_fma_f32 v3, 0x3f3d2fb0, v97, -v57
	v_fmamk_f32 v2, v96, 0x3f3d2fb0, v56
	v_mul_f32_e32 v55, 0xbf2c7751, v49
	s_delay_alu instid0(VALU_DEP_4) | instskip(NEXT) | instid1(VALU_DEP_3)
	v_dual_mul_f32 v66, 0xbf7ee86f, v45 :: v_dual_mul_f32 v61, 0xbf7ee86f, v50
	v_dual_add_f32 v3, v3, v5 :: v_dual_add_f32 v2, v2, v4
	v_add_f32_e32 v111, v11, v29
	v_mul_f32_e32 v63, 0xbf7ee86f, v49
	v_dual_mul_f32 v38, 0xbeb8f4ab, v45 :: v_dual_mul_f32 v39, 0xbeb8f4ab, v48
	v_mul_f32_e32 v62, 0xbf65296c, v48
	v_dual_add_f32 v110, v10, v28 :: v_dual_mul_f32 v71, 0xbf4c4adb, v49
	v_fmamk_f32 v42, v96, 0x3dbcf732, v66
	v_fma_f32 v51, 0x3dbcf732, v111, -v63
	v_fma_f32 v1, 0x3f6eb680, v97, -v39
	s_delay_alu instid0(VALU_DEP_4)
	v_fmamk_f32 v47, v110, 0x3dbcf732, v61
	v_fmamk_f32 v0, v96, 0x3f6eb680, v38
	v_fma_f32 v41, 0x3ee437d1, v97, -v62
	v_fma_f32 v43, 0x3dbcf732, v97, -v68
	v_dual_add_f32 v1, v1, v5 :: v_dual_add_f32 v42, v42, v4
	v_dual_add_f32 v3, v51, v3 :: v_dual_mul_f32 v54, 0xbf2c7751, v50
	v_sub_f32_e32 v51, v31, v9
	v_dual_mul_f32 v80, 0xbe3c28d5, v49 :: v_dual_sub_f32 v103, v21, v15
	v_dual_add_f32 v0, v0, v4 :: v_dual_add_f32 v43, v43, v5
	v_add_f32_e32 v41, v41, v5
	v_fma_f32 v46, 0x3f3d2fb0, v111, -v55
	v_fmamk_f32 v40, v96, 0x3ee437d1, v60
	v_add_f32_e32 v2, v47, v2
	v_fma_f32 v47, 0xbf7ba420, v111, -v80
	v_fmamk_f32 v44, v110, 0x3f3d2fb0, v54
	v_mul_f32_e32 v74, 0x3e3c28d5, v51
	v_sub_f32_e32 v52, v30, v8
	v_add_f32_e32 v116, v8, v30
	v_mul_f32_e32 v67, 0xbf4c4adb, v50
	v_dual_add_f32 v1, v46, v1 :: v_dual_add_f32 v40, v40, v4
	v_dual_add_f32 v43, v47, v43 :: v_dual_add_f32 v0, v44, v0
	v_add_f32_e32 v119, v9, v31
	v_mul_f32_e32 v59, 0xbf65296c, v52
	v_fmamk_f32 v53, v116, 0xbf7ba420, v74
	v_dual_mul_f32 v70, 0xbf4c4adb, v52 :: v_dual_add_f32 v121, v15, v21
	v_dual_mul_f32 v69, 0xbf4c4adb, v51 :: v_dual_add_f32 v120, v14, v20
	v_mul_f32_e32 v75, 0xbe3c28d5, v103
	s_delay_alu instid0(VALU_DEP_3) | instskip(SKIP_3) | instid1(VALU_DEP_3)
	v_fma_f32 v47, 0xbf1a4643, v119, -v70
	v_fmamk_f32 v44, v110, 0xbf1a4643, v67
	v_dual_mul_f32 v64, 0xbf7ee86f, v103 :: v_dual_sub_f32 v149, v22, v12
	v_sub_f32_e32 v161, v34, v16
	v_dual_add_f32 v3, v47, v3 :: v_dual_add_f32 v40, v44, v40
	v_fma_f32 v44, 0xbf1a4643, v111, -v71
	v_sub_f32_e32 v147, v23, v13
	v_mul_f32_e32 v77, 0x3e3c28d5, v52
	s_delay_alu instid0(VALU_DEP_4)
	v_dual_sub_f32 v155, v32, v18 :: v_dual_add_f32 v40, v53, v40
	v_fmamk_f32 v47, v120, 0x3dbcf732, v64
	v_dual_add_f32 v41, v44, v41 :: v_dual_mul_f32 v58, 0xbf65296c, v51
	v_sub_f32_e32 v53, v20, v14
	v_dual_mul_f32 v95, 0x3f763a35, v52 :: v_dual_add_f32 v126, v12, v22
	v_mul_f32_e32 v89, 0x3f2c7751, v147
	s_delay_alu instid0(VALU_DEP_4) | instskip(NEXT) | instid1(VALU_DEP_4)
	v_fmamk_f32 v44, v116, 0x3ee437d1, v58
	v_mul_f32_e32 v65, 0xbf7ee86f, v53
	v_mul_f32_e32 v76, 0xbe3c28d5, v53
	;; [unrolled: 1-line block ×3, first 2 shown]
	v_dual_mul_f32 v72, 0xbf763a35, v147 :: v_dual_add_f32 v131, v19, v33
	v_add_f32_e32 v0, v44, v0
	v_fma_f32 v44, 0x3ee437d1, v119, -v59
	v_mul_f32_e32 v78, 0xbe3c28d5, v50
	v_mul_f32_e32 v83, 0x3f06c442, v147
	;; [unrolled: 1-line block ×4, first 2 shown]
	s_delay_alu instid0(VALU_DEP_4) | instskip(SKIP_2) | instid1(VALU_DEP_3)
	v_dual_add_f32 v1, v44, v1 :: v_dual_fmamk_f32 v46, v110, 0xbf7ba420, v78
	v_fma_f32 v44, 0xbf7ba420, v119, -v77
	v_dual_add_f32 v127, v13, v23 :: v_dual_mul_f32 v118, 0xbf06c442, v156
	v_dual_mul_f32 v123, 0xbf06c442, v155 :: v_dual_add_f32 v42, v46, v42
	v_fmamk_f32 v46, v116, 0xbf1a4643, v69
	s_delay_alu instid0(VALU_DEP_4) | instskip(SKIP_1) | instid1(VALU_DEP_3)
	v_add_f32_e32 v41, v44, v41
	v_dual_mul_f32 v73, 0xbf763a35, v149 :: v_dual_add_f32 v130, v18, v32
	v_dual_mul_f32 v113, 0xbeb8f4ab, v155 :: v_dual_add_f32 v2, v46, v2
	v_fma_f32 v46, 0xbe8c1d8e, v119, -v95
	v_dual_add_f32 v134, v17, v35 :: v_dual_mul_f32 v91, 0xbf06c442, v161
	v_mul_f32_e32 v122, 0xbf7ee86f, v161
	s_delay_alu instid0(VALU_DEP_3)
	v_dual_mul_f32 v128, 0x3f4c4adb, v161 :: v_dual_add_f32 v43, v46, v43
	v_fmamk_f32 v46, v120, 0xbf7ba420, v75
	v_mul_f32_e32 v86, 0x3f763a35, v53
	v_mul_f32_e32 v99, 0x3f2c7751, v149
	v_fma_f32 v93, 0xbf59a7d5, v134, -v91
	v_dual_add_f32 v136, v26, v24 :: v_dual_mul_f32 v139, 0x3f06c442, v50
	v_add_f32_e32 v2, v46, v2
	v_fma_f32 v46, 0xbe8c1d8e, v121, -v86
	v_mul_f32_e32 v84, 0x3f763a35, v51
	v_mul_f32_e32 v140, 0x3f2c7751, v51
	;; [unrolled: 1-line block ×3, first 2 shown]
	v_sub_f32_e32 v175, v35, v17
	s_delay_alu instid0(VALU_DEP_4) | instskip(SKIP_3) | instid1(VALU_DEP_4)
	v_dual_add_f32 v41, v46, v41 :: v_dual_fmamk_f32 v44, v116, 0xbe8c1d8e, v84
	v_mul_f32_e32 v90, 0x3eb8f4ab, v103
	v_mul_f32_e32 v152, 0xbf763a35, v48
	;; [unrolled: 1-line block ×3, first 2 shown]
	v_dual_mul_f32 v107, 0xbf65296c, v147 :: v_dual_add_f32 v42, v44, v42
	v_fma_f32 v44, 0x3dbcf732, v121, -v65
	v_mul_f32_e32 v124, 0x3f4c4adb, v175
	v_mul_f32_e32 v81, 0xbf4c4adb, v155
	;; [unrolled: 1-line block ×3, first 2 shown]
	v_dual_mul_f32 v180, 0x3f65296c, v50 :: v_dual_mul_f32 v181, 0x3f65296c, v49
	v_add_f32_e32 v1, v44, v1
	v_fma_f32 v44, 0xbf7ba420, v121, -v76
	v_mul_f32_e32 v159, 0xbf2c7751, v156
	v_mul_f32_e32 v148, 0x3f7ee86f, v155
	v_fmamk_f32 v183, v111, 0x3ee437d1, v181
	v_fma_f32 v181, 0x3ee437d1, v111, -v181
	v_add_f32_e32 v3, v44, v3
	v_fmamk_f32 v44, v120, 0x3f6eb680, v90
	v_mul_f32_e32 v79, 0xbf4c4adb, v156
	v_mul_f32_e32 v150, 0xbf65296c, v53
	;; [unrolled: 1-line block ×3, first 2 shown]
	v_dual_mul_f32 v184, 0xbf7ee86f, v51 :: v_dual_mul_f32 v185, 0xbf7ee86f, v52
	v_add_f32_e32 v42, v44, v42
	v_fma_f32 v44, 0x3f6eb680, v121, -v108
	v_mul_f32_e32 v168, 0x3f763a35, v49
	v_mul_f32_e32 v166, 0xbeb8f4ab, v51
	v_dual_mul_f32 v162, 0xbf06c442, v103 :: v_dual_mul_f32 v179, 0xbf06c442, v48
	s_delay_alu instid0(VALU_DEP_4) | instskip(SKIP_3) | instid1(VALU_DEP_3)
	v_add_f32_e32 v43, v44, v43
	v_fma_f32 v44, 0xbe8c1d8e, v127, -v73
	v_dual_mul_f32 v82, 0x3f763a35, v103 :: v_dual_mul_f32 v87, 0x3f763a35, v156
	v_fma_f32 v157, 0xbe8c1d8e, v111, -v168
	v_dual_mul_f32 v164, 0x3f7ee86f, v147 :: v_dual_add_f32 v1, v44, v1
	s_delay_alu instid0(VALU_DEP_3)
	v_dual_add_f32 v0, v47, v0 :: v_dual_fmamk_f32 v47, v120, 0xbe8c1d8e, v82
	v_fmamk_f32 v46, v126, 0xbe8c1d8e, v72
	v_fmamk_f32 v44, v126, 0x3f3d2fb0, v89
	v_mul_f32_e32 v105, 0x3f65296c, v161
	v_mul_f32_e32 v170, 0xbf06c442, v53
	v_add_f32_e32 v40, v47, v40
	v_fma_f32 v47, 0xbf59a7d5, v127, -v85
	v_add_f32_e32 v0, v46, v0
	v_mul_f32_e32 v190, 0xbeb8f4ab, v149
	v_mul_f32_e32 v192, 0xbe3c28d5, v155
	s_delay_alu instid0(VALU_DEP_4)
	v_dual_add_f32 v40, v44, v40 :: v_dual_add_f32 v3, v47, v3
	v_fma_f32 v47, 0xbe8c1d8e, v131, -v98
	v_fmamk_f32 v46, v126, 0xbf59a7d5, v83
	v_mul_f32_e32 v117, 0xbf7ee86f, v175
	v_mul_f32_e32 v172, 0xbe3c28d5, v161
	v_dual_mul_f32 v178, 0xbf06c442, v45 :: v_dual_mul_f32 v51, 0xbf06c442, v51
	s_delay_alu instid0(VALU_DEP_4)
	v_dual_add_f32 v3, v47, v3 :: v_dual_add_f32 v2, v46, v2
	v_fma_f32 v46, 0x3f3d2fb0, v127, -v99
	v_fma_f32 v47, 0xbf59a7d5, v131, -v123
	v_fma_f32 v182, 0x3ee437d1, v110, -v180
	v_fmac_f32_e32 v180, 0x3ee437d1, v110
	v_sub_f32_e32 v177, v24, v26
	v_add_f32_e32 v41, v46, v41
	v_fma_f32 v46, 0x3ee437d1, v127, -v112
	v_sub_f32_e32 v176, v25, v27
	v_dual_mul_f32 v188, 0x3f4c4adb, v103 :: v_dual_add_f32 v137, v27, v25
	v_mul_f32_e32 v129, 0xbf06c442, v177
	s_delay_alu instid0(VALU_DEP_4) | instskip(SKIP_3) | instid1(VALU_DEP_3)
	v_add_f32_e32 v43, v46, v43
	v_fmamk_f32 v44, v126, 0x3ee437d1, v107
	v_mul_f32_e32 v106, 0xbe3c28d5, v176
	v_dual_mul_f32 v115, 0x3eb8f4ab, v177 :: v_dual_mul_f32 v114, 0x3eb8f4ab, v176
	v_dual_add_f32 v43, v47, v43 :: v_dual_add_f32 v42, v44, v42
	v_fmamk_f32 v44, v130, 0xbf1a4643, v79
	v_fmamk_f32 v47, v133, 0x3dbcf732, v117
	s_delay_alu instid0(VALU_DEP_4)
	v_fma_f32 v132, 0x3f6eb680, v137, -v115
	s_clause 0x1
	s_load_b64 s[4:5], s[0:1], 0x20
	s_load_b64 s[2:3], s[0:1], 0x8
	s_waitcnt lgkmcnt(0)
	v_add_f32_e32 v0, v44, v0
	v_fma_f32 v44, 0xbf1a4643, v131, -v81
	v_mul_f32_e32 v109, 0xbe3c28d5, v177
	v_mul_f32_e32 v135, 0x3f2c7751, v177
	s_barrier
	buffer_gl0_inv
	v_add_f32_e32 v1, v44, v1
	v_fma_f32 v44, 0x3f6eb680, v131, -v113
	v_mul_f32_e32 v125, 0xbf06c442, v176
	v_mul_f32_e32 v153, 0x3f06c442, v49
	;; [unrolled: 1-line block ×3, first 2 shown]
	v_add_f32_e32 v1, v93, v1
	v_dual_add_f32 v41, v44, v41 :: v_dual_fmamk_f32 v46, v130, 0xbe8c1d8e, v87
	v_mul_f32_e32 v141, 0xbf65296c, v103
	v_mul_f32_e32 v145, 0xbe3c28d5, v149
	;; [unrolled: 1-line block ×4, first 2 shown]
	v_add_f32_e32 v2, v46, v2
	v_fmamk_f32 v46, v130, 0xbf59a7d5, v118
	v_fmamk_f32 v142, v120, 0x3ee437d1, v141
	v_mul_f32_e32 v171, 0x3f7ee86f, v149
	v_mul_f32_e32 v50, 0x3eb8f4ab, v50
	s_delay_alu instid0(VALU_DEP_4) | instskip(SKIP_4) | instid1(VALU_DEP_4)
	v_dual_mul_f32 v167, 0xbf4c4adb, v48 :: v_dual_add_f32 v42, v46, v42
	v_fma_f32 v46, 0x3ee437d1, v134, -v105
	v_mul_f32_e32 v104, 0xbeb8f4ab, v156
	v_mul_f32_e32 v169, 0xbeb8f4ab, v52
	v_fmamk_f32 v187, v119, 0x3dbcf732, v185
	v_dual_mul_f32 v52, 0xbf06c442, v52 :: v_dual_add_f32 v3, v46, v3
	s_delay_alu instid0(VALU_DEP_4)
	v_fmamk_f32 v88, v130, 0x3f6eb680, v104
	v_fma_f32 v46, 0xbf7ba420, v137, -v109
	v_mul_f32_e32 v151, 0xbf4c4adb, v176
	v_mul_f32_e32 v173, 0xbf2c7751, v155
	v_add_f32_e32 v3, v132, v3
	v_add_f32_e32 v40, v88, v40
	v_mul_f32_e32 v88, 0xbf06c442, v175
	v_add_f32_e32 v94, v46, v1
	v_fma_f32 v1, 0xbf59a7d5, v137, -v129
	v_mul_f32_e32 v132, 0x3f2c7751, v176
	v_add_f32_e32 v40, v47, v40
	v_fmamk_f32 v44, v133, 0xbf59a7d5, v88
	v_fmamk_f32 v158, v136, 0xbf1a4643, v151
	;; [unrolled: 1-line block ×4, first 2 shown]
	v_fma_f32 v160, 0x3f3d2fb0, v131, -v173
	v_add_f32_e32 v0, v44, v0
	v_mul_f32_e32 v100, 0x3f65296c, v175
	v_mul_f32_e32 v189, 0x3f4c4adb, v53
	;; [unrolled: 1-line block ×5, first 2 shown]
	v_fmamk_f32 v44, v133, 0x3ee437d1, v100
	v_mul_f32_e32 v149, 0xbf4c4adb, v149
	s_delay_alu instid0(VALU_DEP_2) | instskip(SKIP_1) | instid1(VALU_DEP_1)
	v_dual_mul_f32 v155, 0x3f65296c, v155 :: v_dual_add_f32 v2, v44, v2
	v_fma_f32 v44, 0x3dbcf732, v134, -v122
	v_add_f32_e32 v41, v44, v41
	v_fma_f32 v44, 0xbf1a4643, v134, -v128
	s_delay_alu instid0(VALU_DEP_2) | instskip(SKIP_1) | instid1(VALU_DEP_3)
	v_add_f32_e32 v1, v1, v41
	v_fmamk_f32 v93, v133, 0xbf1a4643, v124
	v_add_f32_e32 v43, v44, v43
	v_fmamk_f32 v44, v136, 0xbf7ba420, v106
	s_delay_alu instid0(VALU_DEP_3) | instskip(NEXT) | instid1(VALU_DEP_2)
	v_dual_fmamk_f32 v41, v110, 0xbf59a7d5, v139 :: v_dual_add_f32 v42, v93, v42
	v_add_f32_e32 v93, v44, v0
	v_fmamk_f32 v0, v136, 0xbf59a7d5, v125
	v_fma_f32 v44, 0xbe8c1d8e, v97, -v152
	s_delay_alu instid0(VALU_DEP_2) | instskip(SKIP_1) | instid1(VALU_DEP_1)
	v_add_f32_e32 v0, v0, v40
	v_fmamk_f32 v40, v96, 0xbe8c1d8e, v138
	v_add_f32_e32 v40, v40, v4
	s_delay_alu instid0(VALU_DEP_1) | instskip(SKIP_1) | instid1(VALU_DEP_1)
	v_dual_add_f32 v40, v41, v40 :: v_dual_add_f32 v41, v44, v5
	v_fma_f32 v44, 0xbf59a7d5, v111, -v153
	v_add_f32_e32 v41, v44, v41
	v_fmamk_f32 v47, v136, 0x3f6eb680, v114
	s_delay_alu instid0(VALU_DEP_1) | instskip(NEXT) | instid1(VALU_DEP_1)
	v_dual_add_f32 v2, v47, v2 :: v_dual_fmamk_f32 v47, v116, 0x3f3d2fb0, v140
	v_add_f32_e32 v44, v47, v40
	v_fma_f32 v47, 0x3f3d2fb0, v119, -v154
	v_add_f32_e32 v40, v46, v42
	v_fmamk_f32 v46, v126, 0xbf7ba420, v143
	s_delay_alu instid0(VALU_DEP_3) | instskip(SKIP_3) | instid1(VALU_DEP_4)
	v_dual_add_f32 v42, v142, v44 :: v_dual_add_f32 v41, v47, v41
	v_fma_f32 v44, 0x3ee437d1, v121, -v150
	v_mul_f32_e32 v142, 0x3f7ee86f, v156
	v_fma_f32 v47, 0x3f3d2fb0, v137, -v135
	v_add_f32_e32 v42, v46, v42
	v_fma_f32 v46, 0xbf7ba420, v127, -v145
	v_add_f32_e32 v44, v44, v41
	s_delay_alu instid0(VALU_DEP_4) | instskip(SKIP_1) | instid1(VALU_DEP_3)
	v_dual_fmamk_f32 v146, v130, 0x3dbcf732, v142 :: v_dual_add_f32 v41, v47, v43
	v_fma_f32 v47, 0xbf1a4643, v97, -v167
	v_add_f32_e32 v43, v46, v44
	v_fma_f32 v44, 0x3dbcf732, v131, -v148
	s_delay_alu instid0(VALU_DEP_4) | instskip(SKIP_3) | instid1(VALU_DEP_3)
	v_add_f32_e32 v42, v146, v42
	v_fmamk_f32 v46, v133, 0x3f6eb680, v144
	v_mul_f32_e32 v146, 0xbeb8f4ab, v161
	v_add_f32_e32 v47, v47, v5
	v_dual_add_f32 v43, v44, v43 :: v_dual_add_f32 v42, v46, v42
	s_delay_alu instid0(VALU_DEP_3) | instskip(SKIP_1) | instid1(VALU_DEP_1)
	v_fma_f32 v44, 0x3f6eb680, v134, -v146
	v_fmamk_f32 v46, v96, 0xbf1a4643, v163
	v_dual_add_f32 v43, v44, v43 :: v_dual_add_f32 v44, v46, v4
	v_fmamk_f32 v46, v110, 0xbe8c1d8e, v165
	s_delay_alu instid0(VALU_DEP_1) | instskip(SKIP_4) | instid1(VALU_DEP_4)
	v_add_f32_e32 v44, v46, v44
	v_dual_add_f32 v46, v157, v47 :: v_dual_fmamk_f32 v47, v116, 0x3f6eb680, v166
	v_fma_f32 v157, 0x3f6eb680, v119, -v169
	v_add_f32_e32 v42, v158, v42
	v_fma_f32 v158, 0x3dbcf732, v127, -v171
	v_dual_add_f32 v44, v47, v44 :: v_dual_fmamk_f32 v47, v120, 0xbf59a7d5, v162
	s_delay_alu instid0(VALU_DEP_1) | instskip(SKIP_2) | instid1(VALU_DEP_3)
	v_dual_add_f32 v44, v47, v44 :: v_dual_fmamk_f32 v47, v126, 0x3dbcf732, v164
	v_add_f32_e32 v46, v157, v46
	v_fma_f32 v157, 0xbf59a7d5, v121, -v170
	v_add_f32_e32 v44, v47, v44
	s_delay_alu instid0(VALU_DEP_2) | instskip(NEXT) | instid1(VALU_DEP_1)
	v_dual_add_f32 v46, v157, v46 :: v_dual_mul_f32 v157, 0xbf4c4adb, v177
	v_add_f32_e32 v46, v158, v46
	v_fmamk_f32 v47, v130, 0x3f3d2fb0, v159
	v_mul_f32_e32 v158, 0xbe3c28d5, v175
	s_delay_alu instid0(VALU_DEP_4) | instskip(NEXT) | instid1(VALU_DEP_4)
	v_fma_f32 v174, 0xbf1a4643, v137, -v157
	v_add_f32_e32 v46, v160, v46
	s_delay_alu instid0(VALU_DEP_3) | instskip(SKIP_1) | instid1(VALU_DEP_4)
	v_dual_add_f32 v44, v47, v44 :: v_dual_fmamk_f32 v47, v133, 0xbf7ba420, v158
	v_fma_f32 v160, 0xbf7ba420, v134, -v172
	v_dual_add_f32 v43, v174, v43 :: v_dual_fmamk_f32 v174, v97, 0xbf59a7d5, v179
	v_fma_f32 v179, 0xbf59a7d5, v97, -v179
	s_delay_alu instid0(VALU_DEP_3) | instskip(SKIP_1) | instid1(VALU_DEP_3)
	v_dual_add_f32 v44, v47, v44 :: v_dual_add_f32 v47, v160, v46
	v_fma_f32 v46, 0xbf59a7d5, v96, -v178
	v_dual_fmac_f32 v178, 0xbf59a7d5, v96 :: v_dual_add_f32 v179, v179, v5
	v_mul_f32_e32 v160, 0x3f65296c, v176
	v_add_f32_e32 v174, v174, v5
	s_delay_alu instid0(VALU_DEP_4) | instskip(NEXT) | instid1(VALU_DEP_4)
	v_add_f32_e32 v46, v46, v4
	v_dual_add_f32 v178, v178, v4 :: v_dual_add_f32 v179, v181, v179
	s_delay_alu instid0(VALU_DEP_4) | instskip(NEXT) | instid1(VALU_DEP_4)
	v_fmamk_f32 v186, v136, 0x3ee437d1, v160
	v_add_f32_e32 v174, v183, v174
	s_delay_alu instid0(VALU_DEP_4) | instskip(NEXT) | instid1(VALU_DEP_4)
	v_add_f32_e32 v182, v182, v46
	v_add_f32_e32 v178, v180, v178
	v_fma_f32 v180, 0x3dbcf732, v119, -v185
	v_fma_f32 v183, 0x3dbcf732, v116, -v184
	v_add_f32_e32 v46, v186, v44
	v_fmamk_f32 v186, v121, 0xbf1a4643, v189
	v_mul_f32_e32 v185, 0xbe3c28d5, v45
	v_add_f32_e32 v179, v180, v179
	v_fma_f32 v180, 0xbf1a4643, v121, -v189
	v_add_f32_e32 v44, v183, v182
	v_add_f32_e32 v182, v187, v174
	v_fma_f32 v183, 0xbf1a4643, v120, -v188
	v_mul_f32_e32 v187, 0xbeb8f4ab, v147
	v_add_f32_e32 v179, v180, v179
	v_fma_f32 v180, 0x3f6eb680, v127, -v190
	v_mul_f32_e32 v174, 0x3f65296c, v177
	;; [unrolled: 3-line block ×3, first 2 shown]
	v_add_f32_e32 v179, v180, v179
	v_fma_f32 v180, 0xbf7ba420, v131, -v192
	v_fma_f32 v193, 0x3ee437d1, v137, -v174
	v_fmac_f32_e32 v184, 0x3dbcf732, v116
	v_fmac_f32_e32 v187, 0x3f6eb680, v126
	s_delay_alu instid0(VALU_DEP_4)
	v_add_f32_e32 v179, v180, v179
	v_fma_f32 v180, 0xbf7ba420, v96, -v185
	v_dual_fmac_f32 v185, 0xbf7ba420, v96 :: v_dual_add_f32 v182, v186, v182
	v_dual_mul_f32 v186, 0xbe3c28d5, v156 :: v_dual_add_f32 v47, v193, v47
	v_mul_f32_e32 v193, 0x3f2c7751, v175
	v_dual_mul_f32 v175, 0xbf763a35, v175 :: v_dual_add_f32 v44, v183, v44
	s_delay_alu instid0(VALU_DEP_3) | instskip(SKIP_3) | instid1(VALU_DEP_4)
	v_fma_f32 v183, 0xbf7ba420, v130, -v186
	v_add_f32_e32 v182, v191, v182
	v_dual_fmamk_f32 v191, v131, 0xbf7ba420, v192 :: v_dual_add_f32 v178, v184, v178
	v_mul_f32_e32 v184, 0xbf763a35, v177
	v_add_f32_e32 v44, v183, v44
	v_fma_f32 v183, 0x3f3d2fb0, v133, -v193
	s_delay_alu instid0(VALU_DEP_4) | instskip(SKIP_1) | instid1(VALU_DEP_3)
	v_dual_add_f32 v182, v191, v182 :: v_dual_mul_f32 v191, 0x3f2c7751, v161
	v_fmac_f32_e32 v186, 0xbf7ba420, v130
	v_dual_fmac_f32 v193, 0x3f3d2fb0, v133 :: v_dual_add_f32 v44, v183, v44
	s_delay_alu instid0(VALU_DEP_3) | instskip(SKIP_1) | instid1(VALU_DEP_2)
	v_dual_add_f32 v180, v180, v4 :: v_dual_fmamk_f32 v183, v134, 0x3f3d2fb0, v191
	v_add_f32_e32 v185, v185, v4
	v_dual_mul_f32 v156, 0x3f65296c, v156 :: v_dual_add_f32 v181, v183, v182
	v_mul_f32_e32 v182, 0xbf763a35, v176
	s_delay_alu instid0(VALU_DEP_1) | instskip(NEXT) | instid1(VALU_DEP_1)
	v_fma_f32 v183, 0xbe8c1d8e, v136, -v182
	v_dual_add_f32 v44, v183, v44 :: v_dual_fmamk_f32 v183, v137, 0xbe8c1d8e, v184
	v_fma_f32 v184, 0xbe8c1d8e, v137, -v184
	s_delay_alu instid0(VALU_DEP_2) | instskip(NEXT) | instid1(VALU_DEP_1)
	v_dual_fmac_f32 v188, 0xbf1a4643, v120 :: v_dual_add_f32 v45, v183, v181
	v_dual_mul_f32 v181, 0xbe3c28d5, v48 :: v_dual_add_f32 v178, v188, v178
	v_fma_f32 v183, 0x3f6eb680, v110, -v50
	v_fmac_f32_e32 v50, 0x3f6eb680, v110
	s_delay_alu instid0(VALU_DEP_3) | instskip(NEXT) | instid1(VALU_DEP_2)
	v_add_f32_e32 v178, v187, v178
	v_add_f32_e32 v50, v50, v185
	s_delay_alu instid0(VALU_DEP_2) | instskip(SKIP_2) | instid1(VALU_DEP_3)
	v_add_f32_e32 v178, v186, v178
	v_fmamk_f32 v186, v97, 0xbf7ba420, v181
	v_fma_f32 v181, 0xbf7ba420, v97, -v181
	v_add_f32_e32 v48, v193, v178
	v_fma_f32 v178, 0x3f3d2fb0, v134, -v191
	s_delay_alu instid0(VALU_DEP_1)
	v_dual_add_f32 v181, v181, v5 :: v_dual_add_f32 v178, v178, v179
	v_dual_add_f32 v179, v183, v180 :: v_dual_add_f32 v180, v186, v5
	v_fmamk_f32 v183, v111, 0x3f6eb680, v49
	v_fma_f32 v49, 0x3f6eb680, v111, -v49
	v_fma_f32 v186, 0xbf59a7d5, v116, -v51
	v_fmac_f32_e32 v51, 0xbf59a7d5, v116
	s_delay_alu instid0(VALU_DEP_4)
	v_add_f32_e32 v180, v183, v180
	v_fmamk_f32 v183, v119, 0xbf59a7d5, v52
	v_add_f32_e32 v49, v49, v181
	v_fma_f32 v52, 0xbf59a7d5, v119, -v52
	v_add_f32_e32 v50, v51, v50
	v_fma_f32 v51, 0x3f3d2fb0, v121, -v53
	;; [unrolled: 2-line block ×3, first 2 shown]
	v_add_f32_e32 v49, v52, v49
	v_fmac_f32_e32 v103, 0x3f3d2fb0, v120
	v_add_f32_e32 v180, v183, v180
	v_fmamk_f32 v183, v127, 0xbf1a4643, v149
	v_add_f32_e32 v179, v186, v179
	v_add_f32_e32 v49, v51, v49
	v_fma_f32 v51, 0xbf1a4643, v127, -v149
	v_dual_add_f32 v50, v103, v50 :: v_dual_mul_f32 v103, 0xbf763a35, v161
	v_fma_f32 v181, 0x3ee437d1, v130, -v156
	s_delay_alu instid0(VALU_DEP_3) | instskip(SKIP_2) | instid1(VALU_DEP_2)
	v_dual_fmac_f32 v156, 0x3ee437d1, v130 :: v_dual_add_f32 v49, v51, v49
	v_fma_f32 v51, 0x3ee437d1, v131, -v155
	v_mul_f32_e32 v149, 0x3f7ee86f, v176
	v_add_f32_e32 v49, v51, v49
	v_fma_f32 v51, 0xbe8c1d8e, v134, -v103
	s_delay_alu instid0(VALU_DEP_1) | instskip(NEXT) | instid1(VALU_DEP_1)
	v_dual_add_f32 v51, v51, v49 :: v_dual_fmac_f32 v182, 0xbe8c1d8e, v136
	v_dual_add_f32 v49, v184, v178 :: v_dual_add_f32 v48, v182, v48
	v_fmamk_f32 v182, v121, 0x3f3d2fb0, v53
	v_fmamk_f32 v53, v131, 0x3ee437d1, v155
	s_delay_alu instid0(VALU_DEP_2) | instskip(SKIP_1) | instid1(VALU_DEP_2)
	v_dual_mul_f32 v155, 0x3f7ee86f, v177 :: v_dual_add_f32 v180, v182, v180
	v_fma_f32 v182, 0xbf1a4643, v126, -v147
	v_dual_fmac_f32 v147, 0xbf1a4643, v126 :: v_dual_add_f32 v180, v183, v180
	s_delay_alu instid0(VALU_DEP_1) | instskip(SKIP_2) | instid1(VALU_DEP_3)
	v_dual_add_f32 v179, v182, v179 :: v_dual_add_f32 v50, v147, v50
	v_fmamk_f32 v147, v134, 0xbe8c1d8e, v103
	v_fma_f32 v103, 0x3dbcf732, v136, -v149
	v_dual_fmac_f32 v149, 0x3dbcf732, v136 :: v_dual_add_f32 v52, v181, v179
	v_fma_f32 v179, 0xbe8c1d8e, v133, -v175
	v_dual_add_f32 v53, v53, v180 :: v_dual_add_f32 v50, v156, v50
	s_delay_alu instid0(VALU_DEP_2) | instskip(NEXT) | instid1(VALU_DEP_2)
	v_dual_fmac_f32 v175, 0xbe8c1d8e, v133 :: v_dual_add_f32 v52, v179, v52
	v_add_f32_e32 v53, v147, v53
	s_delay_alu instid0(VALU_DEP_2) | instskip(SKIP_1) | instid1(VALU_DEP_4)
	v_dual_fmamk_f32 v147, v137, 0x3dbcf732, v155 :: v_dual_add_f32 v50, v175, v50
	v_fma_f32 v155, 0x3dbcf732, v137, -v155
	v_add_f32_e32 v52, v103, v52
	v_mul_lo_u16 v103, v102, 17
	s_delay_alu instid0(VALU_DEP_4) | instskip(NEXT) | instid1(VALU_DEP_4)
	v_dual_add_f32 v53, v147, v53 :: v_dual_add_f32 v50, v149, v50
	v_add_f32_e32 v51, v155, v51
	s_and_saveexec_b32 s0, vcc_lo
	s_cbranch_execz .LBB0_7
; %bb.6:
	v_mul_f32_e32 v147, 0x3f6eb680, v96
	v_mul_f32_e32 v149, 0x3f6eb680, v97
	v_dual_mul_f32 v155, 0x3f3d2fb0, v96 :: v_dual_mul_f32 v156, 0x3f3d2fb0, v97
	v_dual_mul_f32 v161, 0x3ee437d1, v96 :: v_dual_mul_f32 v208, 0x3ee437d1, v121
	;; [unrolled: 1-line block ×12, first 2 shown]
	v_add_f32_e32 v97, v167, v97
	v_dual_mul_f32 v191, 0x3ee437d1, v119 :: v_dual_mul_f32 v212, 0x3ee437d1, v126
	v_dual_mul_f32 v192, 0xbf1a4643, v116 :: v_dual_mul_f32 v193, 0xbf1a4643, v119
	v_dual_mul_f32 v194, 0xbf7ba420, v116 :: v_dual_mul_f32 v195, 0xbf7ba420, v119
	v_dual_mul_f32 v196, 0xbe8c1d8e, v116 :: v_dual_mul_f32 v197, 0xbe8c1d8e, v119
	v_dual_mul_f32 v198, 0x3f3d2fb0, v116 :: v_dual_mul_f32 v199, 0x3f3d2fb0, v119
	v_dual_mul_f32 v119, 0x3f6eb680, v119 :: v_dual_mul_f32 v206, 0x3f6eb680, v120
	v_dual_mul_f32 v200, 0x3dbcf732, v120 :: v_dual_mul_f32 v201, 0x3dbcf732, v121
	v_dual_mul_f32 v202, 0xbf7ba420, v120 :: v_dual_mul_f32 v203, 0xbf7ba420, v121
	v_dual_mul_f32 v204, 0xbe8c1d8e, v120 :: v_dual_mul_f32 v205, 0xbe8c1d8e, v121
	v_mul_f32_e32 v207, 0x3ee437d1, v120
	v_dual_mul_f32 v120, 0xbf59a7d5, v120 :: v_dual_add_f32 v97, v97, v5
	v_dual_add_f32 v111, v168, v111 :: v_dual_mul_f32 v210, 0xbf59a7d5, v126
	v_dual_sub_f32 v96, v96, v163 :: v_dual_mul_f32 v167, 0x3f6eb680, v121
	v_mul_f32_e32 v121, 0xbf59a7d5, v121
	v_dual_mul_f32 v168, 0xbe8c1d8e, v126 :: v_dual_mul_f32 v209, 0xbe8c1d8e, v127
	v_sub_f32_e32 v110, v110, v165
	s_delay_alu instid0(VALU_DEP_4) | instskip(SKIP_3) | instid1(VALU_DEP_4)
	v_dual_add_f32 v97, v111, v97 :: v_dual_add_f32 v96, v96, v4
	v_add_f32_e32 v111, v169, v119
	v_mul_f32_e32 v213, 0xbf7ba420, v126
	v_mul_f32_e32 v116, 0x3f6eb680, v116
	v_dual_mul_f32 v211, 0x3f3d2fb0, v127 :: v_dual_add_f32 v96, v110, v96
	v_mul_f32_e32 v169, 0x3f3d2fb0, v126
	v_dual_mul_f32 v126, 0x3dbcf732, v126 :: v_dual_add_f32 v97, v111, v97
	v_dual_mul_f32 v214, 0xbf1a4643, v131 :: v_dual_add_f32 v111, v170, v121
	v_dual_mul_f32 v121, 0x3dbcf732, v127 :: v_dual_sub_f32 v120, v120, v162
	v_mul_f32_e32 v170, 0x3ee437d1, v127
	v_mul_f32_e32 v110, 0x3ee437d1, v137
	;; [unrolled: 1-line block ×3, first 2 shown]
	v_dual_mul_f32 v127, 0xbf7ba420, v127 :: v_dual_sub_f32 v126, v126, v164
	v_add_f32_e32 v97, v111, v97
	v_dual_add_f32 v111, v171, v121 :: v_dual_mul_f32 v162, 0x3ee437d1, v134
	v_dual_mul_f32 v121, 0x3f3d2fb0, v131 :: v_dual_add_f32 v110, v174, v110
	s_delay_alu instid0(VALU_DEP_2) | instskip(NEXT) | instid1(VALU_DEP_2)
	v_dual_mul_f32 v174, 0xbf59a7d5, v134 :: v_dual_add_f32 v97, v111, v97
	v_dual_add_f32 v154, v154, v199 :: v_dual_add_f32 v111, v173, v121
	v_mul_f32_e32 v173, 0xbf7ba420, v134
	v_dual_sub_f32 v139, v188, v139 :: v_dual_mul_f32 v188, 0xbf59a7d5, v136
	v_add_f32_e32 v153, v153, v189
	s_delay_alu instid0(VALU_DEP_4) | instskip(NEXT) | instid1(VALU_DEP_4)
	v_add_f32_e32 v97, v111, v97
	v_add_f32_e32 v111, v172, v173
	v_dual_mul_f32 v163, 0xbe8c1d8e, v131 :: v_dual_add_f32 v150, v150, v208
	v_mul_f32_e32 v208, 0x3f3d2fb0, v136
	s_delay_alu instid0(VALU_DEP_3) | instskip(SKIP_3) | instid1(VALU_DEP_3)
	v_dual_sub_f32 v140, v198, v140 :: v_dual_add_f32 v97, v111, v97
	v_dual_sub_f32 v111, v116, v166 :: v_dual_mul_f32 v198, 0xbf1a4643, v136
	v_dual_add_f32 v68, v68, v177 :: v_dual_mul_f32 v171, 0xbf1a4643, v130
	v_mul_f32_e32 v164, 0xbf1a4643, v133
	v_dual_add_f32 v96, v111, v96 :: v_dual_add_f32 v111, v152, v179
	v_mul_f32_e32 v152, 0x3ee437d1, v133
	v_mul_f32_e32 v179, 0x3dbcf732, v133
	s_delay_alu instid0(VALU_DEP_3) | instskip(NEXT) | instid1(VALU_DEP_4)
	v_dual_mul_f32 v215, 0x3f6eb680, v130 :: v_dual_add_f32 v96, v120, v96
	v_dual_add_f32 v111, v111, v5 :: v_dual_mul_f32 v172, 0xbf59a7d5, v130
	v_mul_f32_e32 v116, 0x3dbcf732, v130
	v_add_f32_e32 v68, v68, v5
	s_delay_alu instid0(VALU_DEP_3)
	v_dual_add_f32 v126, v126, v96 :: v_dual_add_f32 v111, v153, v111
	v_mul_f32_e32 v121, 0xbe8c1d8e, v130
	v_mul_f32_e32 v130, 0x3f3d2fb0, v130
	;; [unrolled: 1-line block ×3, first 2 shown]
	v_dual_mul_f32 v173, 0xbf59a7d5, v131 :: v_dual_mul_f32 v166, 0xbf59a7d5, v133
	v_add_f32_e32 v96, v154, v111
	v_sub_f32_e32 v111, v178, v138
	v_mul_f32_e32 v131, 0x3dbcf732, v131
	v_dual_sub_f32 v130, v130, v159 :: v_dual_mul_f32 v153, 0xbf1a4643, v134
	s_delay_alu instid0(VALU_DEP_4) | instskip(NEXT) | instid1(VALU_DEP_4)
	v_add_f32_e32 v150, v150, v96
	v_dual_add_f32 v96, v110, v97 :: v_dual_add_f32 v111, v111, v4
	v_sub_f32_e32 v66, v176, v66
	v_mul_f32_e32 v154, 0xbf7ba420, v137
	v_mul_f32_e32 v178, 0x3f6eb680, v137
	s_delay_alu instid0(VALU_DEP_4) | instskip(SKIP_3) | instid1(VALU_DEP_4)
	v_dual_add_f32 v126, v130, v126 :: v_dual_add_f32 v111, v139, v111
	v_mul_f32_e32 v189, 0x3f6eb680, v133
	v_dual_mul_f32 v133, 0xbf7ba420, v133 :: v_dual_add_f32 v80, v80, v187
	v_add_f32_e32 v66, v66, v4
	v_dual_add_f32 v110, v140, v111 :: v_dual_sub_f32 v111, v207, v141
	v_dual_mul_f32 v199, 0xbf7ba420, v136 :: v_dual_add_f32 v130, v148, v131
	v_mul_f32_e32 v138, 0x3f6eb680, v136
	v_mul_f32_e32 v136, 0x3ee437d1, v136
	s_delay_alu instid0(VALU_DEP_4) | instskip(SKIP_3) | instid1(VALU_DEP_4)
	v_dual_add_f32 v110, v111, v110 :: v_dual_sub_f32 v111, v213, v143
	v_dual_mul_f32 v139, 0x3f3d2fb0, v137 :: v_dual_add_f32 v68, v80, v68
	v_add_f32_e32 v80, v95, v197
	v_mul_f32_e32 v120, 0x3dbcf732, v134
	v_add_f32_e32 v110, v111, v110
	v_sub_f32_e32 v111, v116, v142
	v_add_f32_e32 v97, v145, v127
	v_sub_f32_e32 v127, v133, v158
	v_mul_f32_e32 v159, 0xbf59a7d5, v137
	s_delay_alu instid0(VALU_DEP_4) | instskip(NEXT) | instid1(VALU_DEP_4)
	v_dual_mul_f32 v137, 0xbf1a4643, v137 :: v_dual_add_f32 v110, v111, v110
	v_dual_add_f32 v97, v97, v150 :: v_dual_add_f32 v68, v80, v68
	v_dual_mul_f32 v134, 0x3f6eb680, v134 :: v_dual_sub_f32 v95, v136, v160
	v_add_f32_e32 v62, v62, v175
	s_delay_alu instid0(VALU_DEP_3) | instskip(SKIP_1) | instid1(VALU_DEP_4)
	v_dual_add_f32 v97, v130, v97 :: v_dual_add_f32 v80, v108, v167
	v_add_f32_e32 v126, v127, v126
	v_add_f32_e32 v127, v146, v134
	s_delay_alu instid0(VALU_DEP_4) | instskip(NEXT) | instid1(VALU_DEP_4)
	v_add_f32_e32 v62, v62, v5
	v_dual_add_f32 v71, v71, v185 :: v_dual_add_f32 v68, v80, v68
	s_delay_alu instid0(VALU_DEP_3) | instskip(SKIP_4) | instid1(VALU_DEP_3)
	v_dual_add_f32 v80, v112, v170 :: v_dual_add_f32 v97, v127, v97
	v_sub_f32_e32 v78, v186, v78
	v_add_f32_e32 v116, v157, v137
	v_dual_sub_f32 v127, v189, v144 :: v_dual_sub_f32 v108, v198, v151
	v_dual_add_f32 v62, v71, v62 :: v_dual_add_f32 v71, v77, v195
	v_dual_add_f32 v111, v116, v97 :: v_dual_add_f32 v66, v78, v66
	s_delay_alu instid0(VALU_DEP_3) | instskip(SKIP_1) | instid1(VALU_DEP_4)
	v_dual_add_f32 v97, v127, v110 :: v_dual_sub_f32 v78, v196, v84
	v_add_f32_e32 v68, v80, v68
	v_dual_add_f32 v62, v71, v62 :: v_dual_add_f32 v57, v57, v156
	v_add_f32_e32 v71, v86, v205
	v_add_f32_e32 v80, v123, v173
	v_dual_add_f32 v66, v78, v66 :: v_dual_add_f32 v77, v128, v153
	v_sub_f32_e32 v78, v206, v90
	s_delay_alu instid0(VALU_DEP_4) | instskip(SKIP_2) | instid1(VALU_DEP_4)
	v_add_f32_e32 v62, v71, v62
	v_dual_add_f32 v71, v99, v211 :: v_dual_sub_f32 v60, v161, v60
	v_dual_add_f32 v63, v63, v183 :: v_dual_add_f32 v68, v80, v68
	v_dual_add_f32 v66, v78, v66 :: v_dual_sub_f32 v67, v184, v67
	s_delay_alu instid0(VALU_DEP_3) | instskip(NEXT) | instid1(VALU_DEP_4)
	v_dual_add_f32 v62, v71, v62 :: v_dual_sub_f32 v61, v182, v61
	v_dual_add_f32 v71, v113, v165 :: v_dual_add_f32 v80, v60, v4
	v_sub_f32_e32 v78, v212, v107
	v_sub_f32_e32 v56, v155, v56
	v_add_f32_e32 v110, v108, v97
	s_delay_alu instid0(VALU_DEP_4) | instskip(NEXT) | instid1(VALU_DEP_4)
	v_add_f32_e32 v62, v71, v62
	v_dual_add_f32 v67, v67, v80 :: v_dual_add_f32 v66, v78, v66
	v_dual_add_f32 v78, v135, v139 :: v_dual_sub_f32 v71, v194, v74
	v_add_f32_e32 v68, v77, v68
	v_dual_add_f32 v56, v56, v4 :: v_dual_add_f32 v7, v7, v5
	v_sub_f32_e32 v77, v172, v118
	s_delay_alu instid0(VALU_DEP_4) | instskip(NEXT) | instid1(VALU_DEP_4)
	v_add_f32_e32 v67, v71, v67
	v_dual_sub_f32 v71, v204, v82 :: v_dual_add_f32 v60, v78, v68
	v_add_f32_e32 v68, v122, v120
	v_dual_add_f32 v56, v61, v56 :: v_dual_sub_f32 v61, v192, v69
	v_dual_add_f32 v66, v77, v66 :: v_dual_sub_f32 v77, v164, v124
	v_sub_f32_e32 v74, v208, v132
	s_delay_alu instid0(VALU_DEP_4)
	v_add_f32_e32 v62, v68, v62
	v_add_f32_e32 v68, v129, v159
	v_dual_add_f32 v56, v61, v56 :: v_dual_sub_f32 v61, v202, v75
	v_add_f32_e32 v66, v77, v66
	v_add_f32_e32 v77, v57, v5
	;; [unrolled: 1-line block ×3, first 2 shown]
	s_delay_alu instid0(VALU_DEP_4) | instskip(SKIP_2) | instid1(VALU_DEP_4)
	v_dual_add_f32 v95, v95, v126 :: v_dual_add_f32 v56, v61, v56
	v_sub_f32_e32 v61, v210, v83
	v_dual_add_f32 v57, v68, v62 :: v_dual_add_f32 v68, v70, v193
	v_add_f32_e32 v7, v31, v7
	v_dual_add_f32 v63, v63, v77 :: v_dual_add_f32 v6, v6, v4
	s_delay_alu instid0(VALU_DEP_2) | instskip(NEXT) | instid1(VALU_DEP_2)
	v_add_f32_e32 v7, v21, v7
	v_add_f32_e32 v63, v68, v63
	v_add_f32_e32 v68, v76, v203
	s_delay_alu instid0(VALU_DEP_3) | instskip(SKIP_2) | instid1(VALU_DEP_4)
	v_dual_add_f32 v7, v23, v7 :: v_dual_add_f32 v56, v61, v56
	v_add_f32_e32 v6, v28, v6
	v_dual_sub_f32 v28, v121, v87 :: v_dual_add_f32 v61, v115, v178
	v_add_f32_e32 v63, v68, v63
	v_dual_add_f32 v68, v85, v119 :: v_dual_sub_f32 v23, v147, v38
	s_delay_alu instid0(VALU_DEP_3)
	v_dual_add_f32 v28, v28, v56 :: v_dual_add_f32 v7, v33, v7
	v_add_f32_e32 v6, v30, v6
	v_sub_f32_e32 v30, v152, v100
	v_dual_add_f32 v62, v71, v67 :: v_dual_sub_f32 v67, v169, v89
	v_add_f32_e32 v63, v68, v63
	v_add_f32_e32 v68, v98, v163
	s_delay_alu instid0(VALU_DEP_4) | instskip(NEXT) | instid1(VALU_DEP_4)
	v_dual_add_f32 v21, v30, v28 :: v_dual_add_f32 v28, v39, v149
	v_add_f32_e32 v62, v67, v62
	v_sub_f32_e32 v67, v215, v104
	v_dual_add_f32 v4, v23, v4 :: v_dual_sub_f32 v23, v180, v54
	v_dual_add_f32 v63, v68, v63 :: v_dual_add_f32 v68, v105, v162
	v_add_f32_e32 v7, v35, v7
	s_delay_alu instid0(VALU_DEP_4) | instskip(SKIP_3) | instid1(VALU_DEP_3)
	v_add_f32_e32 v62, v67, v62
	v_sub_f32_e32 v67, v179, v117
	v_add_f32_e32 v5, v28, v5
	v_dual_add_f32 v29, v68, v63 :: v_dual_add_f32 v28, v55, v181
	v_dual_add_f32 v7, v25, v7 :: v_dual_add_f32 v62, v67, v62
	v_sub_f32_e32 v67, v188, v125
	v_add_f32_e32 v20, v20, v6
	s_delay_alu instid0(VALU_DEP_4) | instskip(NEXT) | instid1(VALU_DEP_4)
	v_dual_add_f32 v5, v28, v5 :: v_dual_add_f32 v28, v59, v191
	v_add_f32_e32 v7, v27, v7
	s_delay_alu instid0(VALU_DEP_4) | instskip(SKIP_1) | instid1(VALU_DEP_4)
	v_add_f32_e32 v56, v67, v62
	v_dual_add_f32 v6, v61, v29 :: v_dual_add_f32 v59, v74, v66
	v_add_f32_e32 v5, v28, v5
	s_delay_alu instid0(VALU_DEP_4) | instskip(SKIP_1) | instid1(VALU_DEP_2)
	v_add_f32_e32 v7, v17, v7
	v_dual_add_f32 v17, v73, v209 :: v_dual_add_f32 v20, v22, v20
	v_dual_sub_f32 v22, v138, v114 :: v_dual_add_f32 v7, v19, v7
	s_delay_alu instid0(VALU_DEP_1) | instskip(NEXT) | instid1(VALU_DEP_1)
	v_dual_add_f32 v20, v32, v20 :: v_dual_add_f32 v7, v13, v7
	v_dual_sub_f32 v13, v171, v79 :: v_dual_add_f32 v20, v34, v20
	s_delay_alu instid0(VALU_DEP_1) | instskip(NEXT) | instid1(VALU_DEP_1)
	v_dual_add_f32 v7, v15, v7 :: v_dual_add_f32 v20, v24, v20
	v_add_f32_e32 v7, v9, v7
	v_add_f32_e32 v24, v65, v201
	s_delay_alu instid0(VALU_DEP_3) | instskip(NEXT) | instid1(VALU_DEP_3)
	v_dual_add_f32 v20, v26, v20 :: v_dual_add_f32 v9, v109, v154
	v_add_f32_e32 v11, v11, v7
	s_delay_alu instid0(VALU_DEP_3) | instskip(NEXT) | instid1(VALU_DEP_3)
	v_add_f32_e32 v5, v24, v5
	v_add_f32_e32 v16, v16, v20
	s_delay_alu instid0(VALU_DEP_2) | instskip(NEXT) | instid1(VALU_DEP_2)
	v_dual_sub_f32 v20, v168, v72 :: v_dual_add_f32 v5, v17, v5
	v_dual_add_f32 v16, v18, v16 :: v_dual_add_f32 v17, v81, v214
	s_delay_alu instid0(VALU_DEP_1) | instskip(NEXT) | instid1(VALU_DEP_1)
	v_dual_add_f32 v12, v12, v16 :: v_dual_add_f32 v5, v17, v5
	v_add_f32_e32 v12, v14, v12
	s_delay_alu instid0(VALU_DEP_1) | instskip(SKIP_2) | instid1(VALU_DEP_2)
	v_add_f32_e32 v8, v8, v12
	v_add_f32_e32 v16, v91, v174
	v_dual_add_f32 v4, v23, v4 :: v_dual_sub_f32 v23, v190, v58
	v_dual_sub_f32 v12, v199, v106 :: v_dual_add_f32 v5, v16, v5
	s_delay_alu instid0(VALU_DEP_2) | instskip(SKIP_1) | instid1(VALU_DEP_1)
	v_add_f32_e32 v4, v23, v4
	v_sub_f32_e32 v23, v200, v64
	v_add_f32_e32 v4, v23, v4
	s_delay_alu instid0(VALU_DEP_1) | instskip(NEXT) | instid1(VALU_DEP_1)
	v_add_f32_e32 v4, v20, v4
	v_add_f32_e32 v4, v13, v4
	v_sub_f32_e32 v13, v166, v88
	s_delay_alu instid0(VALU_DEP_1) | instskip(SKIP_2) | instid1(VALU_DEP_3)
	v_add_f32_e32 v4, v13, v4
	v_dual_add_f32 v13, v10, v8 :: v_dual_and_b32 v14, 0xffff, v103
	v_add_f32_e32 v8, v9, v5
	v_dual_add_f32 v10, v37, v11 :: v_dual_add_f32 v7, v12, v4
	s_delay_alu instid0(VALU_DEP_3)
	v_dual_add_f32 v9, v36, v13 :: v_dual_lshlrev_b32 v4, 3, v14
	v_add_f32_e32 v5, v22, v21
	ds_store_2addr_b64 v4, v[9:10], v[7:8] offset1:1
	ds_store_2addr_b64 v4, v[5:6], v[56:57] offset0:2 offset1:3
	ds_store_2addr_b64 v4, v[59:60], v[110:111] offset0:4 offset1:5
	;; [unrolled: 1-line block ×7, first 2 shown]
	ds_store_b64 v4, v[93:94] offset:128
.LBB0_7:
	s_or_b32 exec_lo, exec_lo, s0
	v_add_nc_u32_e32 v4, 0xd00, v101
	v_add_nc_u32_e32 v5, 0x1b00, v101
	s_waitcnt lgkmcnt(0)
	s_barrier
	buffer_gl0_inv
	ds_load_2addr_b64 v[28:31], v101 offset1:221
	ds_load_2addr_b64 v[36:39], v4 offset0:26 offset1:247
	ds_load_2addr_b64 v[32:35], v5 offset0:20 offset1:241
	ds_load_b64 v[54:55], v101 offset:10608
	v_cmp_gt_u16_e64 s0, 0x66, v102
	s_delay_alu instid0(VALU_DEP_1)
	s_and_saveexec_b32 s1, s0
	s_cbranch_execz .LBB0_9
; %bb.8:
	v_add_nc_u32_e32 v4, 0x1100, v101
	v_add_nc_u32_e32 v8, 0x1f00, v101
	ds_load_2addr_b64 v[4:7], v4 offset0:17 offset1:238
	ds_load_2addr_b64 v[8:11], v8 offset0:11 offset1:232
	v_add_nc_u32_e32 v12, 0x300, v101
	s_waitcnt lgkmcnt(1)
	v_dual_mov_b32 v48, v6 :: v_dual_mov_b32 v51, v5
	s_waitcnt lgkmcnt(0)
	v_mov_b32_e32 v47, v9
	ds_load_2addr_b64 v[12:15], v12 offset0:23 offset1:244
	ds_load_b64 v[40:41], v101 offset:11560
	v_dual_mov_b32 v49, v7 :: v_dual_mov_b32 v42, v10
	v_dual_mov_b32 v43, v11 :: v_dual_mov_b32 v46, v8
	s_waitcnt lgkmcnt(1)
	v_dual_mov_b32 v50, v4 :: v_dual_mov_b32 v45, v13
	v_dual_mov_b32 v52, v14 :: v_dual_mov_b32 v53, v15
	v_mov_b32_e32 v44, v12
.LBB0_9:
	s_or_b32 exec_lo, exec_lo, s1
	v_and_b32_e32 v4, 0xff, v102
	v_add_nc_u16 v5, v102, 0x77
	s_delay_alu instid0(VALU_DEP_2) | instskip(NEXT) | instid1(VALU_DEP_2)
	v_mul_lo_u16 v4, 0xf1, v4
	v_and_b32_e32 v6, 0xff, v5
	s_delay_alu instid0(VALU_DEP_2) | instskip(NEXT) | instid1(VALU_DEP_1)
	v_lshrrev_b16 v56, 12, v4
	v_mul_lo_u16 v4, v56, 17
	s_delay_alu instid0(VALU_DEP_1) | instskip(NEXT) | instid1(VALU_DEP_1)
	v_sub_nc_u16 v4, v102, v4
	v_and_b32_e32 v57, 0xff, v4
	v_mul_lo_u16 v4, 0xf1, v6
	s_delay_alu instid0(VALU_DEP_2) | instskip(NEXT) | instid1(VALU_DEP_2)
	v_mul_u32_u24_e32 v6, 6, v57
	v_lshrrev_b16 v70, 12, v4
	s_delay_alu instid0(VALU_DEP_2) | instskip(NEXT) | instid1(VALU_DEP_2)
	v_lshlrev_b32_e32 v4, 3, v6
	v_mul_lo_u16 v6, v70, 17
	s_clause 0x1
	global_load_b128 v[24:27], v4, s[2:3]
	global_load_b128 v[20:23], v4, s[2:3] offset:16
	v_sub_nc_u16 v5, v5, v6
	v_and_b32_e32 v106, 0xffff, v70
	s_waitcnt vmcnt(1) lgkmcnt(2)
	s_delay_alu instid0(VALU_DEP_2)
	v_dual_mul_f32 v59, v36, v27 :: v_dual_and_b32 v104, 0xff, v5
	s_waitcnt vmcnt(0) lgkmcnt(1)
	v_mul_f32_e32 v63, v32, v23
	v_mul_f32_e32 v61, v38, v21
	global_load_b128 v[16:19], v4, s[2:3] offset:32
	v_mul_u32_u24_e32 v4, 6, v104
	v_and_b32_e32 v56, 0xffff, v56
	v_dual_mul_f32 v60, v39, v21 :: v_dual_fmac_f32 v59, v37, v26
	v_dual_mul_f32 v62, v33, v23 :: v_dual_fmac_f32 v61, v39, v20
	s_delay_alu instid0(VALU_DEP_4) | instskip(NEXT) | instid1(VALU_DEP_2)
	v_dual_fmac_f32 v63, v33, v22 :: v_dual_lshlrev_b32 v12, 3, v4
	v_fma_f32 v32, v32, v22, -v62
	s_waitcnt vmcnt(0)
	v_mul_f32_e32 v65, v34, v17
	s_clause 0x2
	global_load_b128 v[8:11], v12, s[2:3]
	global_load_b128 v[4:7], v12, s[2:3] offset:16
	global_load_b128 v[12:15], v12, s[2:3] offset:32
	s_waitcnt lgkmcnt(0)
	v_mul_f32_e32 v67, v54, v19
	v_mul_u32_u24_e32 v56, 0x77, v56
	v_mul_f32_e32 v64, v35, v17
	v_mul_f32_e32 v66, v55, v19
	v_fmac_f32_e32 v65, v35, v16
	v_fmac_f32_e32 v67, v55, v18
	v_add_lshl_u32 v105, v56, v57, 3
	v_mul_f32_e32 v56, v31, v25
	v_dual_mul_f32 v57, v30, v25 :: v_dual_mul_f32 v58, v37, v27
	v_fma_f32 v33, v34, v16, -v64
	s_load_b128 s[4:7], s[4:5], 0x0
	s_delay_alu instid0(VALU_DEP_3) | instskip(NEXT) | instid1(VALU_DEP_3)
	v_fma_f32 v30, v30, v24, -v56
	v_fmac_f32_e32 v57, v31, v24
	v_fma_f32 v31, v36, v26, -v58
	v_fma_f32 v36, v38, v20, -v60
	s_waitcnt vmcnt(0) lgkmcnt(0)
	s_barrier
	buffer_gl0_inv
	v_mul_f32_e32 v35, v53, v9
	v_fma_f32 v34, v54, v18, -v66
	v_dual_mul_f32 v37, v52, v9 :: v_dual_mul_f32 v38, v51, v11
	v_dual_mul_f32 v39, v50, v11 :: v_dual_mul_f32 v60, v43, v13
	;; [unrolled: 1-line block ×3, first 2 shown]
	v_mul_f32_e32 v58, v46, v7
	s_delay_alu instid0(VALU_DEP_4) | instskip(NEXT) | instid1(VALU_DEP_4)
	v_dual_mul_f32 v62, v42, v13 :: v_dual_fmac_f32 v37, v53, v8
	v_dual_mul_f32 v64, v41, v15 :: v_dual_fmac_f32 v39, v51, v10
	s_delay_alu instid0(VALU_DEP_4)
	v_dual_mul_f32 v66, v40, v15 :: v_dual_fmac_f32 v55, v49, v4
	v_mul_f32_e32 v54, v49, v5
	v_fma_f32 v35, v52, v8, -v35
	v_fma_f32 v38, v50, v10, -v38
	v_fmac_f32_e32 v58, v47, v6
	v_fma_f32 v42, v42, v12, -v60
	v_fmac_f32_e32 v62, v43, v12
	v_fma_f32 v40, v40, v14, -v64
	v_fmac_f32_e32 v66, v41, v14
	v_add_f32_e32 v41, v30, v34
	v_add_f32_e32 v43, v57, v67
	v_dual_sub_f32 v47, v30, v34 :: v_dual_add_f32 v30, v31, v33
	v_dual_sub_f32 v49, v57, v67 :: v_dual_add_f32 v34, v59, v65
	v_sub_f32_e32 v31, v31, v33
	v_dual_sub_f32 v33, v59, v65 :: v_dual_add_f32 v50, v36, v32
	v_dual_add_f32 v51, v61, v63 :: v_dual_sub_f32 v32, v32, v36
	s_delay_alu instid0(VALU_DEP_4)
	v_dual_sub_f32 v36, v63, v61 :: v_dual_add_f32 v53, v34, v43
	v_fma_f32 v48, v48, v4, -v54
	v_fma_f32 v46, v46, v6, -v56
	v_add_f32_e32 v52, v30, v41
	v_sub_f32_e32 v54, v30, v41
	v_dual_sub_f32 v59, v34, v43 :: v_dual_sub_f32 v64, v36, v33
	v_sub_f32_e32 v41, v41, v50
	v_dual_sub_f32 v60, v50, v30 :: v_dual_add_f32 v57, v36, v33
	v_dual_sub_f32 v61, v51, v34 :: v_dual_add_f32 v56, v32, v31
	;; [unrolled: 1-line block ×3, first 2 shown]
	v_dual_sub_f32 v67, v49, v36 :: v_dual_sub_f32 v68, v31, v47
	v_dual_sub_f32 v69, v33, v49 :: v_dual_sub_f32 v36, v35, v40
	v_add_f32_e32 v31, v35, v40
	v_add_f32_e32 v33, v38, v42
	v_add_f32_e32 v35, v39, v62
	v_sub_f32_e32 v43, v43, v51
	v_dual_sub_f32 v65, v47, v32 :: v_dual_sub_f32 v30, v37, v66
	v_sub_f32_e32 v32, v39, v62
	v_add_f32_e32 v39, v48, v46
	v_dual_add_f32 v40, v55, v58 :: v_dual_add_f32 v49, v57, v49
	v_sub_f32_e32 v46, v46, v48
	v_sub_f32_e32 v48, v58, v55
	v_add_f32_e32 v55, v50, v52
	v_dual_add_f32 v51, v51, v53 :: v_dual_mul_f32 v62, 0xbf08b237, v63
	v_dual_add_f32 v58, v56, v47 :: v_dual_mul_f32 v47, 0x3f4a47b2, v41
	v_add_f32_e32 v72, v35, v34
	v_mul_f32_e32 v52, 0x3d64c772, v60
	v_mul_f32_e32 v63, 0xbf08b237, v64
	v_dual_mul_f32 v64, 0x3f5ff5aa, v68 :: v_dual_add_f32 v71, v33, v31
	v_dual_sub_f32 v37, v38, v42 :: v_dual_mul_f32 v50, 0x3f4a47b2, v43
	v_dual_mul_f32 v53, 0x3d64c772, v61 :: v_dual_sub_f32 v74, v34, v40
	v_dual_mul_f32 v66, 0x3f5ff5aa, v69 :: v_dual_sub_f32 v73, v31, v39
	v_dual_sub_f32 v42, v39, v33 :: v_dual_sub_f32 v43, v40, v35
	v_dual_sub_f32 v78, v30, v48 :: v_dual_sub_f32 v77, v36, v46
	v_fmamk_f32 v82, v67, 0x3eae86e6, v63
	v_dual_add_f32 v56, v28, v55 :: v_dual_fmamk_f32 v61, v61, 0x3d64c772, v50
	v_dual_add_f32 v57, v29, v51 :: v_dual_fmamk_f32 v60, v60, 0x3d64c772, v47
	v_fmamk_f32 v81, v65, 0x3eae86e6, v62
	v_fma_f32 v68, 0x3f5ff5aa, v68, -v62
	v_add_f32_e32 v62, v39, v71
	v_fma_f32 v69, 0x3f5ff5aa, v69, -v63
	v_add_f32_e32 v63, v40, v72
	v_dual_add_f32 v75, v46, v37 :: v_dual_add_f32 v76, v48, v32
	v_dual_sub_f32 v41, v46, v37 :: v_dual_sub_f32 v38, v48, v32
	v_fma_f32 v79, 0x3f3bfb3b, v54, -v52
	v_fma_f32 v80, 0x3f3bfb3b, v59, -v53
	;; [unrolled: 1-line block ×6, first 2 shown]
	v_mul_f32_e32 v46, 0x3f4a47b2, v73
	v_dual_mul_f32 v48, 0x3f4a47b2, v74 :: v_dual_add_f32 v29, v45, v63
	v_dual_mul_f32 v50, 0x3eae86e6, v77 :: v_dual_mul_f32 v47, 0x3eae86e6, v78
	v_dual_fmamk_f32 v55, v55, 0xbf955555, v56 :: v_dual_add_f32 v28, v44, v62
	v_fmamk_f32 v51, v51, 0xbf955555, v57
	v_dual_add_f32 v53, v75, v36 :: v_dual_add_f32 v52, v76, v30
	v_dual_fmac_f32 v81, 0x3ee1c552, v58 :: v_dual_fmac_f32 v82, 0x3ee1c552, v49
	v_dual_fmac_f32 v68, 0x3ee1c552, v58 :: v_dual_fmac_f32 v69, 0x3ee1c552, v49
	;; [unrolled: 1-line block ×3, first 2 shown]
	v_dual_fmamk_f32 v44, v42, 0x3d64c772, v46 :: v_dual_add_f32 v71, v60, v55
	v_dual_fmamk_f32 v39, v41, 0xbf08b237, v50 :: v_dual_fmamk_f32 v40, v38, 0xbf08b237, v47
	v_dual_add_f32 v64, v79, v55 :: v_dual_fmamk_f32 v45, v62, 0xbf955555, v28
	v_dual_add_f32 v54, v54, v55 :: v_dual_fmamk_f32 v49, v43, 0x3d64c772, v48
	v_add_f32_e32 v72, v61, v51
	s_delay_alu instid0(VALU_DEP_4) | instskip(NEXT) | instid1(VALU_DEP_3)
	v_dual_add_f32 v65, v80, v51 :: v_dual_fmac_f32 v40, 0x3ee1c552, v52
	v_dual_add_f32 v55, v59, v51 :: v_dual_add_f32 v60, v66, v54
	v_dual_fmamk_f32 v51, v63, 0xbf955555, v29 :: v_dual_add_f32 v58, v82, v71
	v_fmac_f32_e32 v39, 0x3ee1c552, v53
	s_delay_alu instid0(VALU_DEP_4) | instskip(SKIP_1) | instid1(VALU_DEP_4)
	v_add_f32_e32 v63, v68, v65
	v_dual_sub_f32 v65, v65, v68 :: v_dual_add_f32 v44, v44, v45
	v_add_f32_e32 v49, v49, v51
	v_dual_sub_f32 v59, v72, v81 :: v_dual_sub_f32 v66, v54, v66
	v_dual_sub_f32 v61, v55, v83 :: v_dual_sub_f32 v62, v64, v69
	v_dual_add_f32 v64, v69, v64 :: v_dual_add_f32 v67, v83, v55
	s_delay_alu instid0(VALU_DEP_4)
	v_dual_sub_f32 v54, v44, v40 :: v_dual_add_f32 v55, v39, v49
	v_dual_sub_f32 v68, v71, v82 :: v_dual_add_f32 v69, v81, v72
	ds_store_2addr_b64 v105, v[56:57], v[58:59] offset1:17
	ds_store_2addr_b64 v105, v[60:61], v[62:63] offset0:34 offset1:51
	ds_store_2addr_b64 v105, v[64:65], v[66:67] offset0:68 offset1:85
	ds_store_b64 v105, v[68:69] offset:816
	s_and_saveexec_b32 s1, s0
	s_cbranch_execz .LBB0_11
; %bb.10:
	v_dual_mul_f32 v53, 0x3ee1c552, v53 :: v_dual_sub_f32 v36, v37, v36
	v_dual_mul_f32 v37, 0x3ee1c552, v52 :: v_dual_sub_f32 v34, v35, v34
	v_dual_sub_f32 v31, v33, v31 :: v_dual_sub_f32 v30, v32, v30
	s_delay_alu instid0(VALU_DEP_3)
	v_fma_f32 v35, 0xbf5ff5aa, v36, -v50
	v_dual_mul_f32 v42, 0x3d64c772, v42 :: v_dual_mul_f32 v43, 0x3d64c772, v43
	v_dual_mul_f32 v33, 0xbf08b237, v41 :: v_dual_mul_f32 v38, 0xbf08b237, v38
	v_fma_f32 v32, 0xbf3bfb3b, v34, -v48
	v_fma_f32 v41, 0xbf3bfb3b, v31, -v46
	v_add_f32_e32 v46, v53, v35
	v_fma_f32 v35, 0xbf5ff5aa, v30, -v47
	v_fma_f32 v34, 0x3f3bfb3b, v34, -v43
	s_delay_alu instid0(VALU_DEP_4) | instskip(SKIP_1) | instid1(VALU_DEP_4)
	v_dual_add_f32 v32, v32, v51 :: v_dual_add_f32 v41, v41, v45
	v_fma_f32 v33, 0x3f5ff5aa, v36, -v33
	v_add_f32_e32 v36, v37, v35
	v_fma_f32 v30, 0x3f5ff5aa, v30, -v38
	v_fma_f32 v35, 0x3f3bfb3b, v31, -v42
	v_sub_f32_e32 v39, v49, v39
	v_add_f32_e32 v38, v53, v33
	s_delay_alu instid0(VALU_DEP_3) | instskip(SKIP_4) | instid1(VALU_DEP_3)
	v_dual_add_f32 v42, v37, v30 :: v_dual_add_f32 v43, v35, v45
	v_add_f32_e32 v31, v46, v32
	v_dual_add_f32 v34, v34, v51 :: v_dual_sub_f32 v37, v32, v46
	v_mul_u32_u24_e32 v45, 0x77, v106
	v_sub_f32_e32 v30, v41, v36
	v_dual_add_f32 v36, v36, v41 :: v_dual_sub_f32 v33, v34, v38
	v_dual_add_f32 v35, v38, v34 :: v_dual_add_f32 v38, v40, v44
	v_sub_f32_e32 v34, v43, v42
	v_add_lshl_u32 v40, v45, v104, 3
	v_add_f32_e32 v32, v42, v43
	ds_store_2addr_b64 v40, v[28:29], v[38:39] offset1:17
	ds_store_2addr_b64 v40, v[36:37], v[34:35] offset0:34 offset1:51
	ds_store_2addr_b64 v40, v[32:33], v[30:31] offset0:68 offset1:85
	ds_store_b64 v40, v[54:55] offset:816
.LBB0_11:
	s_or_b32 exec_lo, exec_lo, s1
	v_mad_u64_u32 v[32:33], null, 0x60, v102, s[2:3]
	s_waitcnt lgkmcnt(0)
	s_barrier
	buffer_gl0_inv
	s_clause 0x5
	global_load_b128 v[48:51], v[32:33], off offset:816
	global_load_b128 v[44:47], v[32:33], off offset:832
	;; [unrolled: 1-line block ×6, first 2 shown]
	ds_load_2addr_b64 v[65:68], v101 offset0:119 offset1:238
	v_add_nc_u32_e32 v80, 0x800, v101
	s_waitcnt vmcnt(5) lgkmcnt(0)
	v_dual_mul_f32 v90, v67, v51 :: v_dual_add_nc_u32 v81, 0x1000, v101
	ds_load_2addr_b64 v[76:79], v81 offset0:83 offset1:202
	v_mul_f32_e32 v61, v68, v51
	ds_load_2addr_b64 v[72:75], v80 offset0:101 offset1:220
	v_add_nc_u32_e32 v83, 0x1800, v101
	v_add_nc_u32_e32 v84, 0x2000, v101
	;; [unrolled: 1-line block ×3, first 2 shown]
	v_mul_f32_e32 v60, v66, v49
	v_fma_f32 v119, v67, v50, -v61
	s_waitcnt vmcnt(3) lgkmcnt(1)
	v_dual_fmac_f32 v90, v68, v50 :: v_dual_mul_f32 v111, v79, v39
	v_mul_f32_e32 v58, v78, v39
	ds_load_2addr_b64 v[85:88], v83 offset0:65 offset1:184
	s_waitcnt lgkmcnt(1)
	v_mul_f32_e32 v99, v75, v47
	v_mul_f32_e32 v71, v74, v47
	ds_load_2addr_b64 v[95:98], v84 offset0:47 offset1:166
	ds_load_b64 v[52:53], v101
	ds_load_2addr_b64 v[107:110], v82 offset0:29 offset1:148
	v_mul_f32_e32 v89, v65, v49
	v_mul_f32_e32 v69, v73, v45
	;; [unrolled: 1-line block ×3, first 2 shown]
	v_fma_f32 v118, v65, v48, -v60
	v_mul_f32_e32 v100, v77, v37
	v_fma_f32 v60, v78, v38, -v111
	v_fma_f32 v120, v72, v44, -v69
	s_waitcnt vmcnt(2) lgkmcnt(3)
	v_dual_fmac_f32 v58, v79, v38 :: v_dual_mul_f32 v113, v88, v31
	s_waitcnt vmcnt(1) lgkmcnt(2)
	v_mul_f32_e32 v114, v96, v41
	s_waitcnt vmcnt(0) lgkmcnt(0)
	v_dual_mul_f32 v56, v95, v41 :: v_dual_mul_f32 v63, v109, v35
	v_mul_f32_e32 v115, v98, v43
	v_mul_f32_e32 v117, v110, v35
	v_dual_mul_f32 v91, v72, v45 :: v_dual_fmac_f32 v70, v77, v36
	v_dual_mul_f32 v112, v86, v29 :: v_dual_mul_f32 v57, v97, v43
	v_dual_mul_f32 v59, v85, v29 :: v_dual_mul_f32 v64, v87, v31
	v_dual_mul_f32 v116, v108, v33 :: v_dual_fmac_f32 v89, v66, v48
	s_delay_alu instid0(VALU_DEP_4)
	v_dual_mul_f32 v62, v107, v33 :: v_dual_fmac_f32 v91, v73, v44
	v_fma_f32 v67, v97, v42, -v115
	v_fma_f32 v65, v109, v34, -v117
	v_fmac_f32_e32 v63, v110, v34
	v_fma_f32 v73, v74, v46, -v99
	v_dual_fmac_f32 v71, v75, v46 :: v_dual_fmac_f32 v56, v96, v40
	v_dual_fmac_f32 v59, v86, v28 :: v_dual_fmac_f32 v64, v88, v30
	v_fma_f32 v68, v95, v40, -v114
	v_dual_fmac_f32 v57, v98, v42 :: v_dual_fmac_f32 v62, v108, v32
	v_fma_f32 v66, v107, v32, -v116
	v_dual_add_f32 v74, v52, v118 :: v_dual_add_f32 v75, v53, v89
	v_sub_f32_e32 v96, v120, v67
	v_dual_sub_f32 v78, v118, v65 :: v_dual_sub_f32 v79, v89, v63
	v_fma_f32 v72, v76, v36, -v100
	v_fma_f32 v61, v85, v28, -v112
	;; [unrolled: 1-line block ×3, first 2 shown]
	v_dual_add_f32 v76, v118, v65 :: v_dual_add_f32 v77, v89, v63
	v_dual_add_f32 v86, v90, v62 :: v_dual_add_f32 v89, v120, v67
	v_dual_sub_f32 v87, v119, v66 :: v_dual_sub_f32 v100, v73, v68
	v_dual_sub_f32 v88, v90, v62 :: v_dual_add_f32 v95, v91, v57
	v_dual_sub_f32 v97, v91, v57 :: v_dual_add_f32 v74, v74, v119
	v_dual_sub_f32 v107, v71, v56 :: v_dual_sub_f32 v110, v72, v69
	v_add_f32_e32 v109, v70, v64
	v_dual_sub_f32 v111, v70, v64 :: v_dual_mul_f32 v112, 0xbeedf032, v78
	v_dual_add_f32 v75, v75, v90 :: v_dual_mul_f32 v122, 0xbf52af12, v88
	v_mul_f32_e32 v90, 0xbeedf032, v79
	v_dual_mul_f32 v113, 0xbf52af12, v79 :: v_dual_mul_f32 v114, 0xbf52af12, v78
	v_dual_mul_f32 v115, 0xbf7e222b, v79 :: v_dual_mul_f32 v116, 0xbf7e222b, v78
	;; [unrolled: 1-line block ×3, first 2 shown]
	v_dual_add_f32 v85, v119, v66 :: v_dual_add_f32 v98, v73, v68
	v_dual_add_f32 v99, v71, v56 :: v_dual_add_f32 v108, v72, v69
	v_mul_f32_e32 v119, 0xbf29c268, v79
	v_dual_mul_f32 v121, 0xbf29c268, v78 :: v_dual_mul_f32 v152, 0xbf29c268, v111
	v_dual_mul_f32 v79, 0xbe750f2a, v79 :: v_dual_mul_f32 v78, 0xbe750f2a, v78
	;; [unrolled: 1-line block ×12, first 2 shown]
	v_dual_mul_f32 v97, 0xbf29c268, v97 :: v_dual_add_f32 v74, v74, v120
	v_dual_mul_f32 v142, 0xbf6f5d39, v107 :: v_dual_mul_f32 v143, 0xbf6f5d39, v100
	v_dual_mul_f32 v144, 0x3f29c268, v107 :: v_dual_mul_f32 v145, 0x3f29c268, v100
	;; [unrolled: 1-line block ×3, first 2 shown]
	v_dual_add_f32 v75, v75, v91 :: v_dual_fmamk_f32 v120, v77, 0x3f62ad3f, v112
	v_fma_f32 v91, 0x3f62ad3f, v76, -v90
	v_dual_fmac_f32 v90, 0x3f62ad3f, v76 :: v_dual_fmamk_f32 v181, v86, 0x3f62ad3f, v87
	v_fma_f32 v112, 0x3f62ad3f, v77, -v112
	v_fma_f32 v162, 0x3f116cb1, v76, -v113
	;; [unrolled: 1-line block ×3, first 2 shown]
	v_fmamk_f32 v167, v77, 0xbeb58ec6, v118
	v_fma_f32 v118, 0xbeb58ec6, v77, -v118
	v_dual_mul_f32 v141, 0xbf52af12, v96 :: v_dual_mul_f32 v156, 0xbf52af12, v111
	v_mul_f32_e32 v96, 0xbf29c268, v96
	v_dual_mul_f32 v148, 0xbf7e222b, v107 :: v_dual_mul_f32 v149, 0xbf7e222b, v100
	v_dual_mul_f32 v150, 0x3e750f2a, v107 :: v_dual_mul_f32 v151, 0x3e750f2a, v100
	;; [unrolled: 1-line block ×3, first 2 shown]
	v_mul_f32_e32 v153, 0xbf29c268, v110
	v_dual_mul_f32 v154, 0x3f7e222b, v111 :: v_dual_mul_f32 v155, 0x3f7e222b, v110
	v_dual_mul_f32 v158, 0x3e750f2a, v111 :: v_dual_mul_f32 v159, 0x3e750f2a, v110
	v_fmamk_f32 v163, v77, 0x3f116cb1, v114
	v_fmac_f32_e32 v113, 0x3f116cb1, v76
	v_fma_f32 v114, 0x3f116cb1, v77, -v114
	v_dual_fmamk_f32 v165, v77, 0x3df6dbef, v116 :: v_dual_add_f32 v90, v52, v90
	v_fmac_f32_e32 v115, 0x3df6dbef, v76
	v_fma_f32 v116, 0x3df6dbef, v77, -v116
	v_fma_f32 v166, 0xbeb58ec6, v76, -v117
	v_fmac_f32_e32 v117, 0xbeb58ec6, v76
	v_fma_f32 v168, 0xbf3f9e67, v76, -v119
	v_fmamk_f32 v169, v77, 0xbf3f9e67, v121
	v_fmac_f32_e32 v119, 0xbf3f9e67, v76
	v_fma_f32 v121, 0xbf3f9e67, v77, -v121
	v_fma_f32 v170, 0xbf788fa5, v76, -v79
	v_fmamk_f32 v171, v77, 0xbf788fa5, v78
	v_fmac_f32_e32 v79, 0xbf788fa5, v76
	v_fma_f32 v76, 0xbf788fa5, v77, -v78
	v_fma_f32 v77, 0x3f116cb1, v85, -v122
	v_fmamk_f32 v78, v86, 0x3f116cb1, v123
	v_mul_f32_e32 v157, 0xbf52af12, v110
	v_fmac_f32_e32 v122, 0x3f116cb1, v85
	v_fma_f32 v174, 0xbf788fa5, v85, -v126
	v_fmamk_f32 v193, v99, 0xbf3f9e67, v145
	v_fma_f32 v194, 0x3f62ad3f, v98, -v146
	v_dual_fmac_f32 v146, 0x3f62ad3f, v98 :: v_dual_add_f32 v73, v74, v73
	v_dual_add_f32 v71, v75, v71 :: v_dual_add_f32 v118, v53, v118
	v_dual_add_f32 v74, v52, v91 :: v_dual_add_f32 v91, v53, v112
	v_add_f32_e32 v112, v52, v162
	s_delay_alu instid0(VALU_DEP_3)
	v_add_f32_e32 v70, v71, v70
	v_add_f32_e32 v162, v52, v164
	v_fma_f32 v123, 0x3f116cb1, v86, -v123
	v_fma_f32 v172, 0xbeb58ec6, v85, -v124
	v_dual_fmamk_f32 v173, v86, 0xbeb58ec6, v125 :: v_dual_fmac_f32 v124, 0xbeb58ec6, v85
	v_fma_f32 v125, 0xbeb58ec6, v86, -v125
	v_dual_fmamk_f32 v175, v86, 0xbf788fa5, v127 :: v_dual_fmac_f32 v126, 0xbf788fa5, v85
	v_fma_f32 v127, 0xbf788fa5, v86, -v127
	v_fma_f32 v176, 0xbf3f9e67, v85, -v128
	v_dual_fmamk_f32 v177, v86, 0xbf3f9e67, v129 :: v_dual_fmac_f32 v128, 0xbf3f9e67, v85
	v_fma_f32 v129, 0xbf3f9e67, v86, -v129
	v_fma_f32 v178, 0x3df6dbef, v85, -v130
	v_dual_fmamk_f32 v179, v86, 0x3df6dbef, v131 :: v_dual_fmac_f32 v130, 0x3df6dbef, v85
	v_fma_f32 v131, 0x3df6dbef, v86, -v131
	v_fma_f32 v180, 0x3f62ad3f, v85, -v88
	v_dual_fmac_f32 v88, 0x3f62ad3f, v85 :: v_dual_fmamk_f32 v187, v95, 0x3f62ad3f, v139
	v_fma_f32 v85, 0x3f62ad3f, v86, -v87
	v_fma_f32 v86, 0x3df6dbef, v89, -v132
	v_fmac_f32_e32 v132, 0x3df6dbef, v89
	v_fma_f32 v182, 0xbf788fa5, v89, -v134
	v_fmac_f32_e32 v134, 0xbf788fa5, v89
	;; [unrolled: 2-line block ×3, first 2 shown]
	v_fma_f32 v186, 0x3f62ad3f, v89, -v138
	v_dual_fmac_f32 v138, 0x3f62ad3f, v89 :: v_dual_fmamk_f32 v195, v99, 0x3f62ad3f, v147
	v_fma_f32 v188, 0x3f116cb1, v89, -v140
	v_dual_fmamk_f32 v189, v95, 0x3f116cb1, v141 :: v_dual_fmac_f32 v140, 0x3f116cb1, v89
	v_fma_f32 v190, 0xbf3f9e67, v89, -v97
	v_fmamk_f32 v191, v95, 0xbf3f9e67, v96
	v_dual_fmac_f32 v97, 0xbf3f9e67, v89 :: v_dual_add_f32 v114, v53, v114
	v_fma_f32 v89, 0xbf3f9e67, v95, -v96
	v_fmamk_f32 v96, v99, 0xbeb58ec6, v143
	v_dual_fmamk_f32 v201, v99, 0x3f116cb1, v100 :: v_dual_add_f32 v116, v53, v116
	v_dual_fmamk_f32 v203, v109, 0x3df6dbef, v155 :: v_dual_add_f32 v164, v52, v166
	v_fmamk_f32 v207, v109, 0xbf788fa5, v159
	v_add_f32_e32 v75, v53, v120
	v_add_f32_e32 v120, v53, v163
	v_dual_fmamk_f32 v205, v109, 0x3f116cb1, v157 :: v_dual_add_f32 v166, v52, v168
	v_dual_add_f32 v113, v52, v113 :: v_dual_add_f32 v72, v73, v72
	v_add_f32_e32 v163, v53, v165
	v_add_f32_e32 v115, v52, v115
	v_dual_add_f32 v165, v53, v167 :: v_dual_add_f32 v168, v52, v170
	v_add_f32_e32 v71, v77, v74
	v_add_f32_e32 v74, v122, v90
	v_dual_add_f32 v90, v174, v162 :: v_dual_add_f32 v117, v52, v117
	v_fmamk_f32 v87, v95, 0x3df6dbef, v133
	v_fma_f32 v133, 0x3df6dbef, v95, -v133
	v_fmamk_f32 v183, v95, 0xbf788fa5, v135
	v_fma_f32 v135, 0xbf788fa5, v95, -v135
	;; [unrolled: 2-line block ×3, first 2 shown]
	v_fma_f32 v139, 0x3f62ad3f, v95, -v139
	v_fma_f32 v141, 0x3f116cb1, v95, -v141
	;; [unrolled: 1-line block ×3, first 2 shown]
	v_fmac_f32_e32 v142, 0xbeb58ec6, v98
	v_fma_f32 v143, 0xbeb58ec6, v99, -v143
	v_fma_f32 v192, 0xbf3f9e67, v98, -v144
	v_fmac_f32_e32 v144, 0xbf3f9e67, v98
	v_fma_f32 v145, 0xbf3f9e67, v99, -v145
	v_fma_f32 v147, 0x3f62ad3f, v99, -v147
	v_fma_f32 v196, 0x3df6dbef, v98, -v148
	v_dual_fmamk_f32 v197, v99, 0x3df6dbef, v149 :: v_dual_fmac_f32 v148, 0x3df6dbef, v98
	v_fma_f32 v149, 0x3df6dbef, v99, -v149
	v_fma_f32 v198, 0xbf788fa5, v98, -v150
	v_dual_fmamk_f32 v199, v99, 0xbf788fa5, v151 :: v_dual_fmac_f32 v150, 0xbf788fa5, v98
	v_fma_f32 v151, 0xbf788fa5, v99, -v151
	v_fma_f32 v200, 0x3f116cb1, v98, -v107
	v_fmac_f32_e32 v107, 0x3f116cb1, v98
	v_fma_f32 v98, 0x3f116cb1, v99, -v100
	v_fma_f32 v99, 0xbf3f9e67, v108, -v152
	v_dual_fmac_f32 v152, 0xbf3f9e67, v108 :: v_dual_add_f32 v167, v53, v169
	v_add_f32_e32 v119, v52, v119
	v_add_f32_e32 v169, v53, v171
	;; [unrolled: 1-line block ×4, first 2 shown]
	v_dual_add_f32 v75, v123, v91 :: v_dual_add_f32 v72, v72, v60
	v_dual_add_f32 v77, v173, v120 :: v_dual_add_f32 v70, v70, v58
	;; [unrolled: 1-line block ×4, first 2 shown]
	s_delay_alu instid0(VALU_DEP_2)
	v_dual_add_f32 v113, v127, v116 :: v_dual_add_f32 v78, v134, v78
	v_dual_add_f32 v114, v176, v164 :: v_dual_add_f32 v121, v53, v121
	;; [unrolled: 1-line block ×3, first 2 shown]
	v_add_f32_e32 v76, v172, v112
	v_add_f32_e32 v112, v126, v115
	;; [unrolled: 1-line block ×7, first 2 shown]
	v_dual_add_f32 v121, v131, v121 :: v_dual_add_f32 v122, v180, v168
	v_dual_add_f32 v52, v88, v52 :: v_dual_add_f32 v71, v86, v71
	v_add_f32_e32 v73, v87, v73
	v_dual_add_f32 v75, v133, v75 :: v_dual_add_f32 v72, v72, v61
	v_dual_add_f32 v76, v182, v76 :: v_dual_add_f32 v77, v183, v77
	v_add_f32_e32 v70, v70, v59
	v_dual_add_f32 v86, v185, v91 :: v_dual_add_f32 v87, v136, v112
	v_add_f32_e32 v88, v137, v113
	v_add_f32_e32 v53, v85, v53
	;; [unrolled: 1-line block ×3, first 2 shown]
	v_dual_add_f32 v90, v186, v114 :: v_dual_add_f32 v91, v187, v115
	v_add_f32_e32 v76, v192, v76
	v_add_f32_e32 v112, v138, v116
	v_fma_f32 v202, 0x3df6dbef, v108, -v154
	v_fmac_f32_e32 v154, 0x3df6dbef, v108
	v_fma_f32 v204, 0x3f116cb1, v108, -v156
	v_fmac_f32_e32 v156, 0x3f116cb1, v108
	v_fma_f32 v206, 0xbf788fa5, v108, -v158
	v_dual_fmac_f32 v158, 0xbf788fa5, v108 :: v_dual_add_f32 v123, v181, v169
	v_dual_add_f32 v114, v188, v118 :: v_dual_add_f32 v79, v135, v79
	v_dual_add_f32 v74, v142, v74 :: v_dual_add_f32 v113, v139, v117
	;; [unrolled: 1-line block ×3, first 2 shown]
	v_add_f32_e32 v116, v140, v119
	v_add_f32_e32 v118, v190, v122
	;; [unrolled: 1-line block ×4, first 2 shown]
	v_dual_add_f32 v71, v95, v71 :: v_dual_add_f32 v64, v70, v64
	v_dual_add_f32 v73, v96, v73 :: v_dual_add_f32 v86, v195, v86
	v_dual_add_f32 v89, v196, v90 :: v_dual_add_f32 v90, v197, v91
	v_add_f32_e32 v91, v148, v112
	v_add_f32_e32 v69, v72, v69
	v_dual_add_f32 v75, v143, v75 :: v_dual_add_f32 v72, v152, v74
	v_dual_add_f32 v79, v145, v79 :: v_dual_add_f32 v56, v64, v56
	v_add_f32_e32 v88, v147, v88
	v_dual_add_f32 v96, v198, v114 :: v_dual_add_f32 v97, v199, v115
	v_add_f32_e32 v64, v202, v76
	v_add_f32_e32 v76, v205, v86
	;; [unrolled: 1-line block ×4, first 2 shown]
	v_dual_add_f32 v85, v194, v85 :: v_dual_add_f32 v68, v69, v68
	v_dual_add_f32 v117, v141, v121 :: v_dual_add_f32 v112, v150, v116
	;; [unrolled: 1-line block ×3, first 2 shown]
	s_delay_alu instid0(VALU_DEP_3)
	v_add_f32_e32 v67, v68, v67
	v_dual_mul_f32 v160, 0x3eedf032, v111 :: v_dual_mul_f32 v161, 0x3eedf032, v110
	v_fma_f32 v155, 0x3df6dbef, v109, -v155
	v_fma_f32 v157, 0x3f116cb1, v109, -v157
	v_add_f32_e32 v95, v149, v113
	v_dual_add_f32 v113, v151, v117 :: v_dual_add_f32 v62, v56, v62
	v_add_f32_e32 v57, v67, v66
	v_dual_add_f32 v52, v107, v52 :: v_dual_add_f32 v53, v98, v53
	v_add_f32_e32 v78, v157, v88
	v_sub_f32_e32 v98, v60, v61
	s_delay_alu instid0(VALU_DEP_4)
	v_dual_add_f32 v56, v57, v65 :: v_dual_add_f32 v57, v62, v63
	v_fmamk_f32 v63, v109, 0x3f62ad3f, v161
	v_mul_f32_e32 v65, 0xbf6f5d39, v111
	v_fmamk_f32 v100, v109, 0xbf3f9e67, v153
	v_fma_f32 v153, 0xbf3f9e67, v109, -v153
	v_dual_add_f32 v119, v191, v123 :: v_dual_add_f32 v114, v200, v118
	v_dual_add_f32 v77, v193, v77 :: v_dual_add_f32 v70, v99, v71
	v_add_f32_e32 v68, v155, v79
	v_fma_f32 v62, 0x3f62ad3f, v108, -v160
	v_sub_f32_e32 v91, v58, v59
	v_add_f32_e32 v99, v58, v59
	v_mul_f32_e32 v59, 0xbe750f2a, v98
	v_add_f32_e32 v79, v206, v89
	v_add_f32_e32 v89, v63, v97
	v_fma_f32 v63, 0xbeb58ec6, v108, -v65
	v_fma_f32 v159, 0xbf788fa5, v109, -v159
	v_dual_add_f32 v115, v201, v119 :: v_dual_add_f32 v88, v62, v96
	v_dual_add_f32 v71, v100, v73 :: v_dual_fmac_f32 v160, 0x3f62ad3f, v108
	v_dual_add_f32 v73, v153, v75 :: v_dual_mul_f32 v66, 0xbf6f5d39, v110
	v_dual_add_f32 v75, v204, v85 :: v_dual_add_f32 v96, v63, v114
	v_fma_f32 v62, 0x3f62ad3f, v109, -v161
	v_add_f32_e32 v97, v60, v61
	v_mul_f32_e32 v63, 0xbe750f2a, v91
	v_add_f32_e32 v69, v203, v77
	v_fma_f32 v60, 0xbeb58ec6, v109, -v66
	v_fmac_f32_e32 v65, 0xbeb58ec6, v108
	v_mul_f32_e32 v61, 0x3eedf032, v98
	v_fma_f32 v58, 0xbf788fa5, v97, -v63
	v_add_f32_e32 v77, v156, v87
	v_add_f32_e32 v87, v159, v95
	v_dual_add_f32 v95, v62, v113 :: v_dual_fmamk_f32 v62, v109, 0xbeb58ec6, v66
	v_dual_add_f32 v85, v207, v90 :: v_dual_add_f32 v108, v60, v53
	v_add_f32_e32 v90, v160, v112
	v_fma_f32 v53, 0xbf788fa5, v99, -v59
	s_delay_alu instid0(VALU_DEP_4) | instskip(SKIP_2) | instid1(VALU_DEP_2)
	v_add_f32_e32 v100, v62, v115
	v_mul_f32_e32 v62, 0x3eedf032, v91
	v_add_f32_e32 v58, v58, v70
	v_fma_f32 v60, 0x3f62ad3f, v97, -v62
	v_dual_fmac_f32 v62, 0x3f62ad3f, v97 :: v_dual_add_f32 v107, v65, v52
	v_fmamk_f32 v52, v99, 0xbf788fa5, v59
	s_delay_alu instid0(VALU_DEP_3) | instskip(NEXT) | instid1(VALU_DEP_3)
	v_dual_mul_f32 v65, 0xbf29c268, v91 :: v_dual_add_f32 v60, v60, v64
	v_dual_add_f32 v66, v62, v74 :: v_dual_fmac_f32 v63, 0xbf788fa5, v97
	s_delay_alu instid0(VALU_DEP_3) | instskip(SKIP_2) | instid1(VALU_DEP_4)
	v_add_f32_e32 v59, v52, v71
	v_fma_f32 v64, 0x3f62ad3f, v99, -v61
	v_dual_add_f32 v53, v53, v73 :: v_dual_mul_f32 v70, 0x3f52af12, v91
	v_add_f32_e32 v52, v63, v72
	v_fmamk_f32 v63, v99, 0x3f62ad3f, v61
	s_delay_alu instid0(VALU_DEP_4) | instskip(SKIP_2) | instid1(VALU_DEP_4)
	v_dual_mul_f32 v72, 0xbf6f5d39, v91 :: v_dual_add_f32 v67, v64, v68
	v_mul_f32_e32 v71, 0x3f52af12, v98
	v_mul_f32_e32 v73, 0xbf6f5d39, v98
	v_add_f32_e32 v61, v63, v69
	v_mul_f32_e32 v69, 0xbf29c268, v98
	v_fma_f32 v63, 0xbf3f9e67, v97, -v65
	v_fmac_f32_e32 v65, 0xbf3f9e67, v97
	s_delay_alu instid0(VALU_DEP_3) | instskip(NEXT) | instid1(VALU_DEP_3)
	v_fma_f32 v68, 0xbf3f9e67, v99, -v69
	v_add_f32_e32 v62, v63, v75
	s_delay_alu instid0(VALU_DEP_2) | instskip(SKIP_1) | instid1(VALU_DEP_1)
	v_dual_add_f32 v64, v65, v77 :: v_dual_add_f32 v65, v68, v78
	v_mul_f32_e32 v78, 0x3f7e222b, v91
	v_fma_f32 v77, 0x3df6dbef, v97, -v78
	v_fmac_f32_e32 v78, 0x3df6dbef, v97
	s_delay_alu instid0(VALU_DEP_1) | instskip(SKIP_1) | instid1(VALU_DEP_2)
	v_dual_add_f32 v78, v78, v107 :: v_dual_fmamk_f32 v63, v99, 0xbf3f9e67, v69
	v_fma_f32 v69, 0x3f116cb1, v97, -v70
	v_dual_fmac_f32 v70, 0x3f116cb1, v97 :: v_dual_add_f32 v63, v63, v76
	v_fma_f32 v76, 0xbeb58ec6, v97, -v72
	s_delay_alu instid0(VALU_DEP_3) | instskip(SKIP_1) | instid1(VALU_DEP_4)
	v_dual_add_f32 v68, v69, v79 :: v_dual_fmamk_f32 v69, v99, 0x3f116cb1, v71
	v_fma_f32 v71, 0x3f116cb1, v99, -v71
	v_add_f32_e32 v74, v70, v86
	s_delay_alu instid0(VALU_DEP_4)
	v_add_f32_e32 v70, v76, v88
	v_add_nc_u32_e32 v88, 0x1400, v101
	v_dual_mul_f32 v76, 0x3f7e222b, v98 :: v_dual_add_f32 v69, v69, v85
	v_add_f32_e32 v75, v71, v87
	v_dual_fmamk_f32 v71, v99, 0xbeb58ec6, v73 :: v_dual_fmac_f32 v72, 0xbeb58ec6, v97
	v_fma_f32 v73, 0xbeb58ec6, v99, -v73
	s_delay_alu instid0(VALU_DEP_4) | instskip(SKIP_1) | instid1(VALU_DEP_4)
	v_fmamk_f32 v79, v99, 0x3df6dbef, v76
	v_fma_f32 v85, 0x3df6dbef, v99, -v76
	v_dual_add_f32 v71, v71, v89 :: v_dual_add_f32 v72, v72, v90
	s_delay_alu instid0(VALU_DEP_4)
	v_add_f32_e32 v73, v73, v95
	v_add_f32_e32 v76, v77, v96
	;; [unrolled: 1-line block ×4, first 2 shown]
	v_add_nc_u32_e32 v85, 0xc00, v101
	v_add_nc_u32_e32 v86, 0x1c00, v101
	;; [unrolled: 1-line block ×4, first 2 shown]
	ds_store_b64 v101, v[56:57]
	ds_store_b64 v101, v[58:59] offset:952
	ds_store_2addr_b64 v87, v[60:61], v[62:63] offset0:110 offset1:229
	ds_store_2addr_b64 v85, v[68:69], v[70:71] offset0:92 offset1:211
	;; [unrolled: 1-line block ×5, first 2 shown]
	ds_store_b64 v101, v[52:53] offset:11424
	s_waitcnt lgkmcnt(0)
	s_barrier
	buffer_gl0_inv
	s_and_saveexec_b32 s2, vcc_lo
	s_cbranch_execz .LBB0_13
; %bb.12:
	v_add_co_u32 v91, s1, s12, v101
	s_delay_alu instid0(VALU_DEP_1) | instskip(NEXT) | instid1(VALU_DEP_2)
	v_add_co_ci_u32_e64 v97, null, s13, 0, s1
	v_add_co_u32 v87, s1, 0x3000, v91
	s_delay_alu instid0(VALU_DEP_1) | instskip(SKIP_1) | instid1(VALU_DEP_1)
	v_add_co_ci_u32_e64 v88, s1, 0, v97, s1
	v_add_co_u32 v89, s1, 0x3058, v91
	v_add_co_ci_u32_e64 v90, s1, 0, v97, s1
	global_load_b64 v[87:88], v[87:88], off offset:88
	v_add_co_u32 v95, s1, 0x4000, v91
	global_load_b64 v[99:100], v[89:90], off offset:728
	v_add_co_ci_u32_e64 v96, s1, 0, v97, s1
	s_clause 0x7
	global_load_b64 v[131:132], v[89:90], off offset:1456
	global_load_b64 v[133:134], v[89:90], off offset:2184
	;; [unrolled: 1-line block ×8, first 2 shown]
	v_add_co_u32 v89, s1, 0x5000, v91
	s_delay_alu instid0(VALU_DEP_1)
	v_add_co_ci_u32_e64 v90, s1, 0, v97, s1
	s_clause 0x6
	global_load_b64 v[147:148], v[95:96], off offset:3272
	global_load_b64 v[149:150], v[95:96], off offset:4000
	;; [unrolled: 1-line block ×7, first 2 shown]
	ds_load_b64 v[89:90], v101
	s_waitcnt vmcnt(16) lgkmcnt(0)
	v_mul_f32_e32 v91, v90, v88
	v_mul_f32_e32 v96, v89, v88
	s_delay_alu instid0(VALU_DEP_2) | instskip(NEXT) | instid1(VALU_DEP_2)
	v_fma_f32 v95, v89, v87, -v91
	v_fmac_f32_e32 v96, v90, v87
	ds_store_b64 v101, v[95:96]
	ds_load_2addr_b64 v[87:90], v101 offset0:91 offset1:182
	ds_load_2addr_b64 v[95:98], v80 offset0:17 offset1:108
	;; [unrolled: 1-line block ×8, first 2 shown]
	s_waitcnt vmcnt(15) lgkmcnt(7)
	v_mul_f32_e32 v161, v87, v100
	s_waitcnt vmcnt(11) lgkmcnt(5)
	v_dual_mul_f32 v162, v88, v100 :: v_dual_mul_f32 v167, v110, v138
	s_waitcnt vmcnt(9)
	v_dual_mul_f32 v163, v90, v132 :: v_dual_mul_f32 v166, v108, v142
	v_dual_mul_f32 v100, v89, v132 :: v_dual_fmac_f32 v161, v88, v99
	v_mul_f32_e32 v164, v96, v134
	v_mul_f32_e32 v91, v95, v134
	v_dual_mul_f32 v165, v98, v136 :: v_dual_mul_f32 v134, v107, v142
	v_mul_f32_e32 v132, v97, v136
	s_waitcnt vmcnt(8) lgkmcnt(4)
	v_dual_mul_f32 v136, v109, v138 :: v_dual_mul_f32 v169, v114, v144
	v_mul_f32_e32 v168, v112, v140
	v_mul_f32_e32 v138, v111, v140
	;; [unrolled: 1-line block ×3, first 2 shown]
	s_waitcnt vmcnt(6) lgkmcnt(3)
	v_dual_mul_f32 v170, v116, v146 :: v_dual_mul_f32 v171, v118, v148
	s_waitcnt vmcnt(4) lgkmcnt(2)
	v_dual_mul_f32 v142, v115, v146 :: v_dual_mul_f32 v173, v122, v152
	v_mul_f32_e32 v144, v117, v148
	s_waitcnt vmcnt(2) lgkmcnt(1)
	v_dual_mul_f32 v172, v120, v150 :: v_dual_mul_f32 v175, v126, v156
	v_mul_f32_e32 v146, v119, v150
	v_mul_f32_e32 v148, v121, v152
	;; [unrolled: 1-line block ×5, first 2 shown]
	s_waitcnt vmcnt(1) lgkmcnt(0)
	v_mul_f32_e32 v176, v128, v158
	v_mul_f32_e32 v154, v127, v158
	s_waitcnt vmcnt(0)
	v_mul_f32_e32 v158, v130, v160
	v_mul_f32_e32 v156, v129, v160
	v_fma_f32 v160, v87, v99, -v162
	v_fma_f32 v99, v89, v131, -v163
	v_fmac_f32_e32 v100, v90, v131
	v_fma_f32 v90, v95, v133, -v164
	v_fmac_f32_e32 v91, v96, v133
	;; [unrolled: 2-line block ×15, first 2 shown]
	ds_store_2addr_b64 v101, v[160:161], v[99:100] offset0:91 offset1:182
	ds_store_2addr_b64 v80, v[90:91], v[131:132] offset0:17 offset1:108
	ds_store_2addr_b64 v85, v[133:134], v[135:136] offset0:71 offset1:162
	ds_store_2addr_b64 v81, v[137:138], v[139:140] offset0:125 offset1:216
	ds_store_2addr_b64 v83, v[141:142], v[143:144] offset0:51 offset1:142
	ds_store_2addr_b64 v86, v[145:146], v[147:148] offset0:105 offset1:196
	ds_store_2addr_b64 v84, v[149:150], v[151:152] offset0:159 offset1:250
	ds_store_2addr_b64 v82, v[153:154], v[155:156] offset0:85 offset1:176
.LBB0_13:
	s_or_b32 exec_lo, exec_lo, s2
	s_waitcnt lgkmcnt(0)
	s_barrier
	buffer_gl0_inv
	s_and_saveexec_b32 s1, vcc_lo
	s_cbranch_execz .LBB0_15
; %bb.14:
	v_add_nc_u32_e32 v0, 0x400, v101
	v_add_nc_u32_e32 v1, 0x800, v101
	;; [unrolled: 1-line block ×3, first 2 shown]
	ds_load_2addr_b64 v[56:59], v101 offset1:91
	v_add_nc_u32_e32 v3, 0x2000, v101
	ds_load_2addr_b64 v[60:63], v0 offset0:54 offset1:145
	ds_load_2addr_b64 v[68:71], v1 offset0:108 offset1:199
	v_add_nc_u32_e32 v0, 0x1400, v101
	v_add_nc_u32_e32 v1, 0x1800, v101
	;; [unrolled: 1-line block ×3, first 2 shown]
	ds_load_2addr_b64 v[76:79], v2 offset0:34 offset1:125
	ds_load_2addr_b64 v[72:75], v0 offset0:88 offset1:179
	;; [unrolled: 1-line block ×5, first 2 shown]
	ds_load_b64 v[93:94], v101 offset:11648
.LBB0_15:
	s_or_b32 exec_lo, exec_lo, s1
	s_waitcnt lgkmcnt(0)
	v_dual_sub_f32 v114, v59, v94 :: v_dual_add_f32 v119, v94, v59
	v_dual_add_f32 v107, v93, v58 :: v_dual_sub_f32 v108, v58, v93
	v_add_f32_e32 v141, v65, v79
	s_delay_alu instid0(VALU_DEP_3) | instskip(NEXT) | instid1(VALU_DEP_4)
	v_dual_add_f32 v123, v3, v61 :: v_dual_mul_f32 v88, 0xbf59a7d5, v119
	v_mul_f32_e32 v83, 0xbf06c442, v114
	v_mul_f32_e32 v100, 0x3dbcf732, v119
	;; [unrolled: 1-line block ×3, first 2 shown]
	s_delay_alu instid0(VALU_DEP_4) | instskip(SKIP_2) | instid1(VALU_DEP_3)
	v_fmamk_f32 v89, v108, 0x3f06c442, v88
	v_fmac_f32_e32 v88, 0xbf06c442, v108
	s_barrier
	v_fma_f32 v80, 0x3dbcf732, v107, -v99
	buffer_gl0_inv
	v_add_f32_e32 v109, v2, v60
	v_add_f32_e32 v88, v57, v88
	v_dual_mul_f32 v142, 0xbf1a4643, v119 :: v_dual_add_f32 v89, v57, v89
	v_add_f32_e32 v80, v56, v80
	v_sub_f32_e32 v116, v61, v3
	v_mul_f32_e32 v91, 0xbf7ba420, v119
	s_delay_alu instid0(VALU_DEP_4) | instskip(SKIP_3) | instid1(VALU_DEP_4)
	v_fmamk_f32 v86, v108, 0xbf4c4adb, v142
	v_fmamk_f32 v87, v107, 0xbf59a7d5, v83
	v_fma_f32 v83, 0xbf59a7d5, v107, -v83
	v_mul_f32_e32 v90, 0xbe3c28d5, v114
	v_dual_mul_f32 v139, 0x3f06c442, v116 :: v_dual_add_f32 v86, v57, v86
	s_delay_alu instid0(VALU_DEP_4) | instskip(NEXT) | instid1(VALU_DEP_4)
	v_dual_mul_f32 v138, 0xbf4c4adb, v114 :: v_dual_add_f32 v87, v56, v87
	v_add_f32_e32 v83, v56, v83
	s_delay_alu instid0(VALU_DEP_4) | instskip(SKIP_1) | instid1(VALU_DEP_4)
	v_fmamk_f32 v95, v107, 0xbf7ba420, v90
	v_fma_f32 v90, 0xbf7ba420, v107, -v90
	v_fma_f32 v85, 0xbf1a4643, v107, -v138
	v_mul_f32_e32 v98, 0xbe8c1d8e, v119
	v_fmamk_f32 v96, v108, 0x3e3c28d5, v91
	v_dual_fmac_f32 v91, 0xbe3c28d5, v108 :: v_dual_sub_f32 v110, v60, v2
	s_delay_alu instid0(VALU_DEP_4) | instskip(NEXT) | instid1(VALU_DEP_4)
	v_add_f32_e32 v85, v56, v85
	v_dual_mul_f32 v97, 0xbf763a35, v114 :: v_dual_fmamk_f32 v84, v108, 0xbf763a35, v98
	v_fmamk_f32 v81, v108, 0xbf7ee86f, v100
	v_mul_f32_e32 v136, 0xbf7ba420, v123
	v_add_f32_e32 v90, v56, v90
	s_delay_alu instid0(VALU_DEP_4) | instskip(SKIP_1) | instid1(VALU_DEP_4)
	v_fma_f32 v82, 0xbe8c1d8e, v107, -v97
	v_add_f32_e32 v84, v57, v84
	v_dual_add_f32 v81, v57, v81 :: v_dual_fmamk_f32 v112, v110, 0xbe3c28d5, v136
	v_mul_f32_e32 v134, 0xbe3c28d5, v116
	s_delay_alu instid0(VALU_DEP_4) | instskip(SKIP_1) | instid1(VALU_DEP_4)
	v_dual_add_f32 v82, v56, v82 :: v_dual_add_f32 v91, v57, v91
	v_dual_add_f32 v95, v56, v95 :: v_dual_add_f32 v96, v57, v96
	v_add_f32_e32 v81, v112, v81
	s_delay_alu instid0(VALU_DEP_4) | instskip(SKIP_3) | instid1(VALU_DEP_4)
	v_fma_f32 v111, 0xbf7ba420, v109, -v134
	v_dual_mul_f32 v143, 0xbf59a7d5, v123 :: v_dual_sub_f32 v120, v63, v1
	v_sub_f32_e32 v124, v69, v55
	v_sub_f32_e32 v128, v71, v53
	v_add_f32_e32 v80, v111, v80
	v_fma_f32 v111, 0xbf59a7d5, v109, -v139
	v_mul_f32_e32 v151, 0xbe8c1d8e, v123
	v_fmamk_f32 v112, v110, 0x3f06c442, v143
	v_mul_f32_e32 v140, 0x3f763a35, v120
	v_mul_f32_e32 v146, 0x3eb8f4ab, v124
	v_add_f32_e32 v82, v111, v82
	v_dual_mul_f32 v148, 0x3f763a35, v116 :: v_dual_fmamk_f32 v115, v110, 0x3f763a35, v151
	v_mul_f32_e32 v113, 0x3f65296c, v116
	v_dual_mul_f32 v149, 0x3f2c7751, v120 :: v_dual_add_f32 v132, v53, v71
	s_delay_alu instid0(VALU_DEP_3) | instskip(NEXT) | instid1(VALU_DEP_4)
	v_fma_f32 v111, 0xbe8c1d8e, v109, -v148
	v_add_f32_e32 v86, v115, v86
	v_add_f32_e32 v84, v112, v84
	v_mul_f32_e32 v115, 0x3eb8f4ab, v116
	s_delay_alu instid0(VALU_DEP_4) | instskip(SKIP_4) | instid1(VALU_DEP_4)
	v_dual_mul_f32 v112, 0x3ee437d1, v123 :: v_dual_add_f32 v85, v111, v85
	v_fmamk_f32 v111, v109, 0x3ee437d1, v113
	v_fma_f32 v113, 0x3ee437d1, v109, -v113
	v_mul_f32_e32 v169, 0x3dbcf732, v132
	v_mul_f32_e32 v160, 0xbe3c28d5, v128
	v_dual_mul_f32 v162, 0xbf7ba420, v132 :: v_dual_add_f32 v87, v111, v87
	v_fmamk_f32 v111, v109, 0x3f6eb680, v115
	v_add_f32_e32 v83, v113, v83
	v_mul_f32_e32 v113, 0x3f6eb680, v123
	v_fma_f32 v115, 0x3f6eb680, v109, -v115
	s_delay_alu instid0(VALU_DEP_4)
	v_dual_mul_f32 v130, 0x3f6eb680, v132 :: v_dual_add_f32 v95, v111, v95
	v_add_f32_e32 v111, v0, v62
	v_fmamk_f32 v117, v110, 0xbf65296c, v112
	v_fmac_f32_e32 v112, 0x3f65296c, v110
	v_dual_add_f32 v90, v115, v90 :: v_dual_mul_f32 v115, 0xbf7ee86f, v120
	v_mul_f32_e32 v174, 0x3f6eb680, v141
	v_mul_f32_e32 v170, 0x3f3d2fb0, v141
	s_delay_alu instid0(VALU_DEP_4) | instskip(SKIP_4) | instid1(VALU_DEP_4)
	v_add_f32_e32 v88, v112, v88
	v_dual_sub_f32 v112, v62, v0 :: v_dual_add_f32 v127, v1, v63
	v_add_f32_e32 v89, v117, v89
	v_fmamk_f32 v117, v110, 0xbeb8f4ab, v113
	v_mul_f32_e32 v180, 0xbf7ba420, v141
	v_mul_f32_e32 v144, 0xbe8c1d8e, v127
	s_delay_alu instid0(VALU_DEP_3) | instskip(SKIP_2) | instid1(VALU_DEP_4)
	v_add_f32_e32 v96, v117, v96
	v_fma_f32 v117, 0xbe8c1d8e, v111, -v140
	v_fmac_f32_e32 v113, 0x3eb8f4ab, v110
	v_fmamk_f32 v118, v112, 0x3f763a35, v144
	v_mul_f32_e32 v158, 0x3f6eb680, v127
	v_dual_fmamk_f32 v121, v111, 0x3dbcf732, v115 :: v_dual_mul_f32 v122, 0x3dbcf732, v127
	v_add_f32_e32 v80, v117, v80
	v_add_f32_e32 v91, v113, v91
	s_delay_alu instid0(VALU_DEP_4)
	v_dual_add_f32 v81, v118, v81 :: v_dual_fmamk_f32 v118, v112, 0xbeb8f4ab, v158
	v_mul_f32_e32 v155, 0xbeb8f4ab, v120
	v_fma_f32 v113, 0x3f3d2fb0, v111, -v149
	v_add_f32_e32 v87, v121, v87
	v_fma_f32 v115, 0x3dbcf732, v111, -v115
	v_add_f32_e32 v86, v118, v86
	v_fma_f32 v117, 0x3f6eb680, v111, -v155
	v_mul_f32_e32 v150, 0x3f3d2fb0, v127
	v_add_f32_e32 v82, v113, v82
	s_delay_alu instid0(VALU_DEP_3) | instskip(NEXT) | instid1(VALU_DEP_3)
	v_add_f32_e32 v85, v117, v85
	v_fmamk_f32 v113, v112, 0x3f2c7751, v150
	v_mul_f32_e32 v117, 0xbf06c442, v120
	v_mul_f32_e32 v118, 0xbf59a7d5, v127
	s_delay_alu instid0(VALU_DEP_3) | instskip(NEXT) | instid1(VALU_DEP_1)
	v_dual_add_f32 v84, v113, v84 :: v_dual_fmamk_f32 v113, v112, 0x3f7ee86f, v122
	v_dual_fmac_f32 v122, 0xbf7ee86f, v112 :: v_dual_add_f32 v89, v113, v89
	s_delay_alu instid0(VALU_DEP_4) | instskip(NEXT) | instid1(VALU_DEP_4)
	v_fmamk_f32 v113, v111, 0xbf59a7d5, v117
	v_fmamk_f32 v121, v112, 0x3f06c442, v118
	v_dual_add_f32 v131, v55, v69 :: v_dual_fmac_f32 v118, 0xbf06c442, v112
	s_delay_alu instid0(VALU_DEP_3) | instskip(NEXT) | instid1(VALU_DEP_2)
	v_dual_mul_f32 v154, 0xbf65296c, v124 :: v_dual_add_f32 v95, v113, v95
	v_dual_add_f32 v113, v54, v68 :: v_dual_mul_f32 v152, 0x3f6eb680, v131
	s_delay_alu instid0(VALU_DEP_3) | instskip(SKIP_1) | instid1(VALU_DEP_3)
	v_add_f32_e32 v91, v118, v91
	v_dual_mul_f32 v163, 0xbf59a7d5, v131 :: v_dual_add_f32 v88, v122, v88
	v_fma_f32 v118, 0x3ee437d1, v113, -v154
	s_delay_alu instid0(VALU_DEP_1) | instskip(SKIP_1) | instid1(VALU_DEP_1)
	v_add_f32_e32 v82, v118, v82
	v_fma_f32 v117, 0xbf59a7d5, v111, -v117
	v_dual_add_f32 v90, v117, v90 :: v_dual_add_f32 v83, v115, v83
	v_add_f32_e32 v96, v121, v96
	v_fma_f32 v121, 0x3f6eb680, v113, -v146
	s_delay_alu instid0(VALU_DEP_1) | instskip(NEXT) | instid1(VALU_DEP_1)
	v_dual_sub_f32 v115, v68, v54 :: v_dual_add_f32 v80, v121, v80
	v_dual_mul_f32 v161, 0xbf06c442, v124 :: v_dual_fmamk_f32 v122, v115, 0xbf06c442, v163
	v_fmamk_f32 v117, v115, 0x3eb8f4ab, v152
	v_mul_f32_e32 v121, 0x3f4c4adb, v124
	s_delay_alu instid0(VALU_DEP_3) | instskip(NEXT) | instid1(VALU_DEP_4)
	v_fma_f32 v118, 0xbf59a7d5, v113, -v161
	v_add_f32_e32 v86, v122, v86
	s_delay_alu instid0(VALU_DEP_4) | instskip(NEXT) | instid1(VALU_DEP_3)
	v_dual_mul_f32 v156, 0x3ee437d1, v131 :: v_dual_add_f32 v81, v117, v81
	v_dual_mul_f32 v122, 0x3f2c7751, v124 :: v_dual_add_f32 v85, v118, v85
	v_fmamk_f32 v118, v113, 0xbf1a4643, v121
	s_delay_alu instid0(VALU_DEP_3) | instskip(SKIP_2) | instid1(VALU_DEP_4)
	v_fmamk_f32 v117, v115, 0xbf65296c, v156
	v_fma_f32 v121, 0xbf1a4643, v113, -v121
	v_mul_f32_e32 v157, 0x3ee437d1, v132
	v_dual_add_f32 v87, v118, v87 :: v_dual_fmamk_f32 v118, v113, 0x3f3d2fb0, v122
	s_delay_alu instid0(VALU_DEP_4) | instskip(NEXT) | instid1(VALU_DEP_4)
	v_dual_add_f32 v84, v117, v84 :: v_dual_mul_f32 v117, 0xbf1a4643, v131
	v_add_f32_e32 v83, v121, v83
	v_mul_f32_e32 v121, 0x3f3d2fb0, v131
	s_delay_alu instid0(VALU_DEP_4) | instskip(NEXT) | instid1(VALU_DEP_4)
	v_add_f32_e32 v95, v118, v95
	v_dual_sub_f32 v118, v70, v52 :: v_dual_fmamk_f32 v125, v115, 0xbf4c4adb, v117
	v_fmac_f32_e32 v117, 0x3f4c4adb, v115
	v_fma_f32 v122, 0x3f3d2fb0, v113, -v122
	s_delay_alu instid0(VALU_DEP_3) | instskip(NEXT) | instid1(VALU_DEP_3)
	v_fmamk_f32 v126, v118, 0xbf65296c, v157
	v_add_f32_e32 v88, v117, v88
	v_add_f32_e32 v89, v125, v89
	s_delay_alu instid0(VALU_DEP_4) | instskip(SKIP_1) | instid1(VALU_DEP_2)
	v_dual_fmamk_f32 v125, v115, 0xbf2c7751, v121 :: v_dual_add_f32 v90, v122, v90
	v_dual_add_f32 v117, v52, v70 :: v_dual_mul_f32 v122, 0xbeb8f4ab, v128
	v_dual_add_f32 v81, v126, v81 :: v_dual_add_f32 v96, v125, v96
	v_fmac_f32_e32 v121, 0x3f2c7751, v115
	s_delay_alu instid0(VALU_DEP_1) | instskip(NEXT) | instid1(VALU_DEP_4)
	v_add_f32_e32 v91, v121, v91
	v_fma_f32 v121, 0xbf7ba420, v117, -v160
	s_delay_alu instid0(VALU_DEP_1) | instskip(NEXT) | instid1(VALU_DEP_1)
	v_dual_mul_f32 v153, 0xbf65296c, v128 :: v_dual_add_f32 v82, v121, v82
	v_fma_f32 v125, 0x3ee437d1, v117, -v153
	v_fmamk_f32 v129, v117, 0x3f6eb680, v122
	v_fma_f32 v122, 0x3f6eb680, v117, -v122
	s_delay_alu instid0(VALU_DEP_3) | instskip(NEXT) | instid1(VALU_DEP_3)
	v_dual_add_f32 v80, v125, v80 :: v_dual_add_f32 v135, v67, v77
	v_add_f32_e32 v87, v129, v87
	s_delay_alu instid0(VALU_DEP_2) | instskip(SKIP_4) | instid1(VALU_DEP_2)
	v_mul_f32_e32 v176, 0x3f3d2fb0, v135
	v_sub_f32_e32 v133, v77, v67
	v_dual_add_f32 v83, v122, v83 :: v_dual_sub_f32 v122, v76, v66
	v_dual_mul_f32 v167, 0x3f7ee86f, v128 :: v_dual_fmamk_f32 v126, v118, 0x3f7ee86f, v169
	v_mul_f32_e32 v168, 0x3dbcf732, v135
	v_fma_f32 v125, 0x3dbcf732, v117, -v167
	s_delay_alu instid0(VALU_DEP_3) | instskip(NEXT) | instid1(VALU_DEP_2)
	v_add_f32_e32 v86, v126, v86
	v_dual_mul_f32 v126, 0xbf1a4643, v132 :: v_dual_add_f32 v85, v125, v85
	v_mul_f32_e32 v125, 0xbf4c4adb, v128
	s_delay_alu instid0(VALU_DEP_2) | instskip(SKIP_2) | instid1(VALU_DEP_3)
	v_fmamk_f32 v129, v118, 0x3f4c4adb, v126
	v_fmamk_f32 v121, v118, 0xbe3c28d5, v162
	v_fmac_f32_e32 v126, 0xbf4c4adb, v118
	v_add_f32_e32 v96, v129, v96
	s_delay_alu instid0(VALU_DEP_3) | instskip(NEXT) | instid1(VALU_DEP_1)
	v_dual_add_f32 v84, v121, v84 :: v_dual_fmamk_f32 v121, v118, 0x3eb8f4ab, v130
	v_dual_fmac_f32 v130, 0xbeb8f4ab, v118 :: v_dual_add_f32 v89, v121, v89
	s_delay_alu instid0(VALU_DEP_1)
	v_add_f32_e32 v88, v130, v88
	v_fmamk_f32 v130, v122, 0xbf2c7751, v176
	v_fmamk_f32 v121, v117, 0xbf1a4643, v125
	v_mul_f32_e32 v159, 0xbf06c442, v133
	v_fma_f32 v125, 0xbf1a4643, v117, -v125
	v_mul_f32_e32 v166, 0x3f7ee86f, v133
	s_delay_alu instid0(VALU_DEP_4) | instskip(SKIP_1) | instid1(VALU_DEP_4)
	v_dual_add_f32 v86, v130, v86 :: v_dual_add_f32 v95, v121, v95
	v_dual_mul_f32 v130, 0x3f65296c, v133 :: v_dual_add_f32 v121, v66, v76
	v_dual_add_f32 v90, v125, v90 :: v_dual_mul_f32 v173, 0xbf2c7751, v133
	s_delay_alu instid0(VALU_DEP_2) | instskip(NEXT) | instid1(VALU_DEP_1)
	v_fma_f32 v129, 0xbf59a7d5, v121, -v159
	v_dual_add_f32 v80, v129, v80 :: v_dual_mul_f32 v129, 0xbe3c28d5, v133
	v_add_f32_e32 v91, v126, v91
	v_fma_f32 v126, 0x3dbcf732, v121, -v166
	v_mul_f32_e32 v164, 0xbf59a7d5, v135
	s_delay_alu instid0(VALU_DEP_2) | instskip(SKIP_1) | instid1(VALU_DEP_1)
	v_add_f32_e32 v82, v126, v82
	v_fma_f32 v126, 0x3f3d2fb0, v121, -v173
	v_dual_add_f32 v85, v126, v85 :: v_dual_fmamk_f32 v126, v121, 0xbf7ba420, v129
	s_delay_alu instid0(VALU_DEP_1) | instskip(SKIP_1) | instid1(VALU_DEP_2)
	v_dual_add_f32 v87, v126, v87 :: v_dual_fmamk_f32 v126, v121, 0x3ee437d1, v130
	v_fma_f32 v130, 0x3ee437d1, v121, -v130
	v_add_f32_e32 v95, v126, v95
	s_delay_alu instid0(VALU_DEP_2) | instskip(SKIP_1) | instid1(VALU_DEP_1)
	v_add_f32_e32 v90, v130, v90
	v_fma_f32 v129, 0xbf7ba420, v121, -v129
	v_dual_sub_f32 v126, v78, v64 :: v_dual_add_f32 v83, v129, v83
	v_mul_f32_e32 v129, 0x3ee437d1, v135
	s_delay_alu instid0(VALU_DEP_1) | instskip(SKIP_1) | instid1(VALU_DEP_2)
	v_fmamk_f32 v145, v122, 0xbf65296c, v129
	v_fmamk_f32 v125, v122, 0xbf06c442, v164
	v_dual_fmac_f32 v129, 0x3f65296c, v122 :: v_dual_add_f32 v96, v145, v96
	s_delay_alu instid0(VALU_DEP_2) | instskip(SKIP_1) | instid1(VALU_DEP_3)
	v_add_f32_e32 v81, v125, v81
	v_fmamk_f32 v125, v122, 0x3f7ee86f, v168
	v_add_f32_e32 v91, v129, v91
	s_delay_alu instid0(VALU_DEP_2) | instskip(NEXT) | instid1(VALU_DEP_1)
	v_dual_add_f32 v84, v125, v84 :: v_dual_mul_f32 v125, 0xbf7ba420, v135
	v_fmamk_f32 v137, v122, 0x3e3c28d5, v125
	s_delay_alu instid0(VALU_DEP_1) | instskip(SKIP_1) | instid1(VALU_DEP_1)
	v_add_f32_e32 v89, v137, v89
	v_sub_f32_e32 v137, v79, v65
	v_dual_fmac_f32 v125, 0xbe3c28d5, v122 :: v_dual_mul_f32 v178, 0xbe3c28d5, v137
	s_delay_alu instid0(VALU_DEP_1) | instskip(SKIP_1) | instid1(VALU_DEP_1)
	v_dual_add_f32 v88, v125, v88 :: v_dual_add_f32 v125, v64, v78
	v_mul_f32_e32 v172, 0xbeb8f4ab, v137
	v_fma_f32 v129, 0x3f6eb680, v125, -v172
	s_delay_alu instid0(VALU_DEP_1) | instskip(NEXT) | instid1(VALU_DEP_1)
	v_dual_add_f32 v183, v129, v82 :: v_dual_fmamk_f32 v82, v126, 0xbeb8f4ab, v174
	v_add_f32_e32 v84, v82, v84
	v_fmamk_f32 v82, v126, 0xbf2c7751, v170
	v_mul_f32_e32 v130, 0x3f2c7751, v137
	v_mul_f32_e32 v171, 0xbf1a4643, v141
	v_fmac_f32_e32 v170, 0x3f2c7751, v126
	v_mul_f32_e32 v165, 0x3f4c4adb, v137
	s_delay_alu instid0(VALU_DEP_3) | instskip(NEXT) | instid1(VALU_DEP_3)
	v_fmamk_f32 v147, v126, 0x3f4c4adb, v171
	v_add_f32_e32 v88, v170, v88
	s_delay_alu instid0(VALU_DEP_3) | instskip(NEXT) | instid1(VALU_DEP_1)
	v_fma_f32 v145, 0xbf1a4643, v125, -v165
	v_dual_add_f32 v81, v147, v81 :: v_dual_add_f32 v80, v145, v80
	v_fmamk_f32 v145, v126, 0xbe3c28d5, v180
	s_delay_alu instid0(VALU_DEP_1) | instskip(SKIP_4) | instid1(VALU_DEP_4)
	v_add_f32_e32 v184, v145, v86
	v_mul_f32_e32 v86, 0xbf763a35, v137
	v_add_f32_e32 v89, v82, v89
	v_fma_f32 v129, 0xbf7ba420, v125, -v178
	v_sub_f32_e32 v145, v73, v75
	v_fmamk_f32 v82, v125, 0xbe8c1d8e, v86
	s_delay_alu instid0(VALU_DEP_2) | instskip(SKIP_1) | instid1(VALU_DEP_3)
	v_mul_f32_e32 v170, 0x3f2c7751, v145
	v_mul_f32_e32 v181, 0x3f65296c, v145
	v_add_f32_e32 v187, v82, v95
	v_fma_f32 v82, 0xbe8c1d8e, v125, -v86
	v_fmamk_f32 v147, v125, 0x3f3d2fb0, v130
	s_delay_alu instid0(VALU_DEP_2) | instskip(NEXT) | instid1(VALU_DEP_2)
	v_dual_mul_f32 v95, 0xbf763a35, v145 :: v_dual_add_f32 v90, v82, v90
	v_add_f32_e32 v185, v147, v87
	v_add_f32_e32 v147, v75, v73
	s_delay_alu instid0(VALU_DEP_1) | instskip(SKIP_4) | instid1(VALU_DEP_3)
	v_mul_f32_e32 v175, 0x3f3d2fb0, v147
	v_add_f32_e32 v85, v129, v85
	v_fma_f32 v129, 0x3f3d2fb0, v125, -v130
	v_mul_f32_e32 v182, 0x3ee437d1, v147
	v_mul_f32_e32 v179, 0xbf1a4643, v147
	v_dual_add_f32 v186, v129, v83 :: v_dual_add_f32 v129, v74, v72
	v_mul_f32_e32 v87, 0xbe8c1d8e, v141
	s_delay_alu instid0(VALU_DEP_2) | instskip(NEXT) | instid1(VALU_DEP_2)
	v_fma_f32 v83, 0x3f3d2fb0, v129, -v170
	v_fmamk_f32 v130, v126, 0x3f763a35, v87
	s_delay_alu instid0(VALU_DEP_2) | instskip(NEXT) | instid1(VALU_DEP_2)
	v_add_f32_e32 v82, v83, v80
	v_add_f32_e32 v188, v130, v96
	v_sub_f32_e32 v130, v72, v74
	s_delay_alu instid0(VALU_DEP_1) | instskip(NEXT) | instid1(VALU_DEP_1)
	v_fmamk_f32 v86, v130, 0x3f2c7751, v175
	v_add_f32_e32 v83, v86, v81
	v_fmamk_f32 v81, v130, 0xbf4c4adb, v179
	v_fma_f32 v86, 0x3ee437d1, v129, -v181
	s_delay_alu instid0(VALU_DEP_2) | instskip(SKIP_1) | instid1(VALU_DEP_3)
	v_add_f32_e32 v81, v81, v84
	v_fmamk_f32 v84, v129, 0xbe8c1d8e, v95
	v_dual_fmac_f32 v87, 0xbf763a35, v126 :: v_dual_add_f32 v86, v86, v85
	v_mul_f32_e32 v177, 0xbf4c4adb, v145
	s_delay_alu instid0(VALU_DEP_2) | instskip(SKIP_1) | instid1(VALU_DEP_3)
	v_add_f32_e32 v91, v87, v91
	v_fmamk_f32 v87, v130, 0x3f65296c, v182
	v_fma_f32 v80, 0xbf1a4643, v129, -v177
	s_delay_alu instid0(VALU_DEP_2) | instskip(SKIP_1) | instid1(VALU_DEP_3)
	v_add_f32_e32 v87, v87, v184
	v_fma_f32 v184, 0xbe8c1d8e, v129, -v95
	v_add_f32_e32 v80, v80, v183
	v_add_f32_e32 v95, v84, v185
	s_delay_alu instid0(VALU_DEP_3) | instskip(SKIP_2) | instid1(VALU_DEP_2)
	v_dual_mul_f32 v185, 0x3f7ee86f, v145 :: v_dual_add_f32 v84, v184, v186
	v_mul_f32_e32 v183, 0xbe8c1d8e, v147
	v_mul_f32_e32 v189, 0x3dbcf732, v147
	v_fmamk_f32 v85, v130, 0x3f763a35, v183
	s_delay_alu instid0(VALU_DEP_2) | instskip(SKIP_1) | instid1(VALU_DEP_3)
	v_fmamk_f32 v184, v130, 0xbf7ee86f, v189
	v_fmac_f32_e32 v183, 0xbf763a35, v130
	v_dual_fmac_f32 v189, 0x3f7ee86f, v130 :: v_dual_add_f32 v96, v85, v89
	v_fmamk_f32 v89, v129, 0x3dbcf732, v185
	v_fma_f32 v185, 0x3dbcf732, v129, -v185
	s_delay_alu instid0(VALU_DEP_4) | instskip(NEXT) | instid1(VALU_DEP_4)
	v_add_f32_e32 v85, v183, v88
	v_add_f32_e32 v91, v189, v91
	s_delay_alu instid0(VALU_DEP_4) | instskip(NEXT) | instid1(VALU_DEP_4)
	v_dual_add_f32 v88, v89, v187 :: v_dual_add_f32 v89, v184, v188
	v_add_f32_e32 v90, v185, v90
	s_and_saveexec_b32 s1, vcc_lo
	s_cbranch_execz .LBB0_17
; %bb.16:
	v_mul_f32_e32 v188, 0xbf4c4adb, v108
	v_mul_f32_e32 v183, 0x3dbcf732, v107
	;; [unrolled: 1-line block ×3, first 2 shown]
	v_dual_mul_f32 v206, 0xbf06c442, v115 :: v_dual_mul_f32 v213, 0xbf06c442, v122
	s_delay_alu instid0(VALU_DEP_4) | instskip(SKIP_3) | instid1(VALU_DEP_4)
	v_dual_sub_f32 v142, v142, v188 :: v_dual_mul_f32 v185, 0xbe8c1d8e, v107
	v_mul_f32_e32 v186, 0xbf763a35, v108
	v_mul_f32_e32 v212, 0x3f7ee86f, v118
	;; [unrolled: 1-line block ×3, first 2 shown]
	v_add_f32_e32 v142, v57, v142
	v_dual_mul_f32 v210, 0xbe3c28d5, v118 :: v_dual_add_f32 v97, v185, v97
	v_mul_f32_e32 v216, 0xbf2c7751, v122
	v_mul_f32_e32 v199, 0x3f6eb680, v111
	v_mul_f32_e32 v197, 0x3f3d2fb0, v111
	s_delay_alu instid0(VALU_DEP_4) | instskip(SKIP_4) | instid1(VALU_DEP_4)
	v_dual_mul_f32 v198, 0x3f2c7751, v112 :: v_dual_add_f32 v97, v56, v97
	v_mul_f32_e32 v194, 0x3f763a35, v110
	v_mul_f32_e32 v184, 0xbf7ee86f, v108
	v_dual_add_f32 v58, v58, v56 :: v_dual_add_f32 v99, v183, v99
	v_add_f32_e32 v59, v59, v57
	v_sub_f32_e32 v151, v151, v194
	v_mul_f32_e32 v187, 0xbf1a4643, v107
	v_mul_f32_e32 v194, 0x3f3d2fb0, v121
	v_add_f32_e32 v149, v197, v149
	s_delay_alu instid0(VALU_DEP_4) | instskip(NEXT) | instid1(VALU_DEP_4)
	v_dual_add_f32 v99, v56, v99 :: v_dual_add_f32 v142, v151, v142
	v_dual_mul_f32 v189, 0xbf7ba420, v109 :: v_dual_add_f32 v138, v187, v138
	v_mul_f32_e32 v187, 0xbeb8f4ab, v126
	v_dual_mul_f32 v190, 0xbe3c28d5, v110 :: v_dual_sub_f32 v151, v158, v200
	v_mul_f32_e32 v191, 0xbf59a7d5, v109
	s_delay_alu instid0(VALU_DEP_4) | instskip(NEXT) | instid1(VALU_DEP_3)
	v_dual_mul_f32 v193, 0xbe8c1d8e, v109 :: v_dual_add_f32 v138, v56, v138
	v_dual_mul_f32 v195, 0xbe8c1d8e, v111 :: v_dual_add_f32 v142, v151, v142
	s_delay_alu instid0(VALU_DEP_2) | instskip(SKIP_3) | instid1(VALU_DEP_4)
	v_dual_sub_f32 v151, v163, v206 :: v_dual_add_f32 v148, v193, v148
	v_mul_f32_e32 v201, 0x3f6eb680, v113
	v_mul_f32_e32 v203, 0x3ee437d1, v113
	v_mul_f32_e32 v158, 0x3f6eb680, v125
	v_add_f32_e32 v142, v151, v142
	v_dual_add_f32 v138, v148, v138 :: v_dual_sub_f32 v151, v169, v212
	v_dual_mul_f32 v205, 0xbf59a7d5, v113 :: v_dual_add_f32 v148, v199, v155
	v_mul_f32_e32 v207, 0x3ee437d1, v117
	s_delay_alu instid0(VALU_DEP_3) | instskip(SKIP_1) | instid1(VALU_DEP_4)
	v_dual_mul_f32 v209, 0xbf7ba420, v117 :: v_dual_add_f32 v142, v151, v142
	v_sub_f32_e32 v151, v176, v216
	v_dual_add_f32 v138, v148, v138 :: v_dual_mul_f32 v211, 0x3dbcf732, v117
	v_dual_mul_f32 v215, 0x3f7ee86f, v122 :: v_dual_add_f32 v148, v205, v161
	s_delay_alu instid0(VALU_DEP_3) | instskip(SKIP_2) | instid1(VALU_DEP_4)
	v_add_f32_e32 v142, v151, v142
	v_mul_f32_e32 v163, 0xbe3c28d5, v126
	v_dual_mul_f32 v188, 0xbf59a7d5, v121 :: v_dual_add_f32 v139, v191, v139
	v_dual_mul_f32 v217, 0xbf1a4643, v125 :: v_dual_add_f32 v138, v148, v138
	v_dual_mul_f32 v193, 0x3f3d2fb0, v129 :: v_dual_sub_f32 v98, v98, v186
	v_mul_f32_e32 v176, 0x3f65296c, v130
	v_add_f32_e32 v148, v211, v167
	v_dual_mul_f32 v196, 0x3f763a35, v112 :: v_dual_sub_f32 v151, v180, v163
	v_mul_f32_e32 v202, 0x3eb8f4ab, v115
	v_dual_mul_f32 v204, 0xbf65296c, v115 :: v_dual_add_f32 v167, v57, v98
	v_dual_mul_f32 v208, 0xbf65296c, v118 :: v_dual_sub_f32 v143, v143, v192
	v_dual_mul_f32 v218, 0x3f4c4adb, v126 :: v_dual_add_f32 v139, v139, v97
	v_mul_f32_e32 v200, 0xbf7ba420, v125
	v_dual_mul_f32 v169, 0xbf1a4643, v129 :: v_dual_add_f32 v142, v151, v142
	v_dual_mul_f32 v163, 0x3ee437d1, v129 :: v_dual_add_f32 v138, v148, v138
	v_sub_f32_e32 v151, v182, v176
	v_dual_add_f32 v148, v194, v173 :: v_dual_add_f32 v139, v149, v139
	v_mul_f32_e32 v155, 0x3f2c7751, v130
	v_add_f32_e32 v143, v143, v167
	s_delay_alu instid0(VALU_DEP_4) | instskip(NEXT) | instid1(VALU_DEP_4)
	v_add_f32_e32 v98, v151, v142
	v_add_f32_e32 v138, v148, v138
	;; [unrolled: 1-line block ×3, first 2 shown]
	v_sub_f32_e32 v148, v150, v198
	v_mul_f32_e32 v214, 0x3dbcf732, v121
	v_add_f32_e32 v134, v189, v134
	v_sub_f32_e32 v100, v100, v184
	s_delay_alu instid0(VALU_DEP_4) | instskip(SKIP_3) | instid1(VALU_DEP_3)
	v_dual_add_f32 v138, v142, v138 :: v_dual_add_f32 v143, v148, v143
	v_add_f32_e32 v142, v163, v181
	v_sub_f32_e32 v148, v156, v204
	v_dual_sub_f32 v136, v136, v190 :: v_dual_add_f32 v99, v134, v99
	v_dual_add_f32 v134, v195, v140 :: v_dual_add_f32 v97, v142, v138
	s_delay_alu instid0(VALU_DEP_3) | instskip(SKIP_2) | instid1(VALU_DEP_4)
	v_dual_add_f32 v138, v148, v143 :: v_dual_add_f32 v143, v203, v154
	v_sub_f32_e32 v142, v162, v210
	v_dual_add_f32 v140, v169, v177 :: v_dual_mul_f32 v151, 0xbf4c4adb, v116
	v_add_f32_e32 v134, v134, v99
	s_delay_alu instid0(VALU_DEP_4) | instskip(SKIP_3) | instid1(VALU_DEP_3)
	v_add_f32_e32 v139, v143, v139
	v_add_f32_e32 v143, v209, v160
	v_dual_mul_f32 v150, 0x3f3d2fb0, v132 :: v_dual_add_f32 v59, v61, v59
	v_mul_f32_e32 v149, 0xbe8c1d8e, v131
	v_dual_mul_f32 v154, 0x3dbcf732, v141 :: v_dual_add_f32 v139, v143, v139
	v_add_f32_e32 v143, v214, v166
	s_delay_alu instid0(VALU_DEP_4)
	v_add_f32_e32 v59, v63, v59
	v_mul_f32_e32 v161, 0xbf4c4adb, v130
	v_mul_f32_e32 v176, 0x3f06c442, v128
	v_add_f32_e32 v148, v188, v159
	v_dual_add_f32 v139, v143, v139 :: v_dual_add_f32 v100, v57, v100
	v_sub_f32_e32 v143, v157, v208
	v_dual_fmamk_f32 v157, v126, 0x3f7ee86f, v154 :: v_dual_add_f32 v156, v193, v170
	s_delay_alu instid0(VALU_DEP_3) | instskip(SKIP_3) | instid1(VALU_DEP_3)
	v_dual_mul_f32 v61, 0x3eb8f4ab, v145 :: v_dual_add_f32 v100, v136, v100
	v_sub_f32_e32 v136, v144, v196
	v_dual_add_f32 v144, v158, v172 :: v_dual_mul_f32 v159, 0xbf59a7d5, v147
	v_mul_f32_e32 v172, 0x3ee437d1, v141
	v_dual_mul_f32 v163, 0xbf1a4643, v127 :: v_dual_add_f32 v100, v136, v100
	s_delay_alu instid0(VALU_DEP_3) | instskip(SKIP_3) | instid1(VALU_DEP_4)
	v_dual_add_f32 v139, v144, v139 :: v_dual_add_f32 v138, v142, v138
	v_sub_f32_e32 v136, v152, v202
	v_mul_f32_e32 v144, 0x3ee437d1, v119
	v_dual_mul_f32 v152, 0x3f6eb680, v135 :: v_dual_fmamk_f32 v63, v129, 0x3f6eb680, v61
	v_add_f32_e32 v99, v140, v139
	v_mul_f32_e32 v140, 0xbf1a4643, v123
	v_sub_f32_e32 v142, v168, v215
	v_dual_add_f32 v136, v136, v100 :: v_dual_add_f32 v139, v207, v153
	v_mul_f32_e32 v153, 0x3e3c28d5, v120
	v_mul_f32_e32 v168, 0xbf7ee86f, v116
	s_delay_alu instid0(VALU_DEP_3)
	v_dual_mul_f32 v169, 0xbe8c1d8e, v135 :: v_dual_add_f32 v136, v143, v136
	v_fmamk_f32 v143, v110, 0x3f4c4adb, v140
	v_add_f32_e32 v138, v142, v138
	v_sub_f32_e32 v142, v174, v187
	v_fmamk_f32 v170, v109, 0x3dbcf732, v168
	v_mul_f32_e32 v173, 0xbe3c28d5, v124
	v_mul_f32_e32 v160, 0x3dbcf732, v123
	;; [unrolled: 1-line block ×3, first 2 shown]
	v_add_f32_e32 v138, v142, v138
	v_dual_sub_f32 v142, v179, v161 :: v_dual_mul_f32 v123, 0x3f3d2fb0, v123
	v_mul_f32_e32 v177, 0x3f65296c, v137
	v_mul_f32_e32 v161, 0xbf7ee86f, v137
	v_fmac_f32_e32 v140, 0xbf4c4adb, v110
	s_delay_alu instid0(VALU_DEP_4) | instskip(SKIP_4) | instid1(VALU_DEP_4)
	v_add_f32_e32 v100, v142, v138
	v_sub_f32_e32 v138, v164, v213
	v_fmamk_f32 v164, v130, 0x3f06c442, v159
	v_add_f32_e32 v142, v201, v146
	v_mul_f32_e32 v146, 0xbf7ba420, v127
	v_dual_mul_f32 v131, 0x3dbcf732, v131 :: v_dual_add_f32 v136, v138, v136
	v_sub_f32_e32 v138, v171, v218
	s_delay_alu instid0(VALU_DEP_4) | instskip(SKIP_1) | instid1(VALU_DEP_3)
	v_dual_add_f32 v134, v142, v134 :: v_dual_mul_f32 v171, 0xbf4c4adb, v120
	v_dual_sub_f32 v142, v175, v155 :: v_dual_fmamk_f32 v175, v126, 0xbf65296c, v172
	v_add_f32_e32 v136, v138, v136
	v_fmamk_f32 v138, v108, 0x3f65296c, v144
	s_delay_alu instid0(VALU_DEP_4) | instskip(SKIP_1) | instid1(VALU_DEP_3)
	v_dual_add_f32 v134, v139, v134 :: v_dual_add_f32 v59, v69, v59
	v_mul_f32_e32 v69, 0xbeb8f4ab, v114
	v_dual_add_f32 v139, v142, v136 :: v_dual_add_f32 v138, v57, v138
	s_delay_alu instid0(VALU_DEP_3) | instskip(SKIP_2) | instid1(VALU_DEP_4)
	v_add_f32_e32 v134, v148, v134
	v_dual_add_f32 v142, v217, v165 :: v_dual_fmamk_f32 v165, v112, 0x3f4c4adb, v163
	v_dual_add_f32 v58, v60, v58 :: v_dual_fmac_f32 v163, 0xbf4c4adb, v112
	v_add_f32_e32 v136, v143, v138
	v_fmamk_f32 v138, v112, 0xbe3c28d5, v146
	v_fmamk_f32 v178, v110, 0x3f2c7751, v123
	v_mul_f32_e32 v148, 0xbf65296c, v114
	v_dual_add_f32 v134, v142, v134 :: v_dual_fmamk_f32 v143, v109, 0xbf1a4643, v151
	s_delay_alu instid0(VALU_DEP_4) | instskip(SKIP_1) | instid1(VALU_DEP_4)
	v_add_f32_e32 v136, v138, v136
	v_fmamk_f32 v138, v115, 0xbf763a35, v149
	v_dual_fmamk_f32 v142, v107, 0x3ee437d1, v148 :: v_dual_mul_f32 v127, 0x3ee437d1, v127
	v_mul_f32_e32 v155, 0x3f763a35, v124
	v_dual_mul_f32 v158, 0x3f2c7751, v128 :: v_dual_add_f32 v59, v71, v59
	s_delay_alu instid0(VALU_DEP_4) | instskip(SKIP_2) | instid1(VALU_DEP_4)
	v_add_f32_e32 v136, v138, v136
	v_fmamk_f32 v138, v118, 0xbf2c7751, v150
	v_add_f32_e32 v142, v56, v142
	v_dual_add_f32 v58, v62, v58 :: v_dual_add_f32 v59, v77, v59
	s_delay_alu instid0(VALU_DEP_3) | instskip(SKIP_1) | instid1(VALU_DEP_4)
	v_dual_fmac_f32 v123, 0xbf2c7751, v110 :: v_dual_add_f32 v136, v138, v136
	v_fmamk_f32 v138, v122, 0x3eb8f4ab, v152
	v_add_f32_e32 v142, v143, v142
	s_delay_alu instid0(VALU_DEP_4) | instskip(SKIP_1) | instid1(VALU_DEP_4)
	v_dual_fmamk_f32 v143, v111, 0xbf7ba420, v153 :: v_dual_add_f32 v58, v68, v58
	v_mul_f32_e32 v68, 0xbf2c7751, v116
	v_add_f32_e32 v136, v138, v136
	v_add_f32_e32 v138, v156, v134
	s_delay_alu instid0(VALU_DEP_4) | instskip(NEXT) | instid1(VALU_DEP_4)
	v_dual_add_f32 v142, v143, v142 :: v_dual_fmamk_f32 v143, v113, 0xbe8c1d8e, v155
	v_dual_mul_f32 v156, 0x3f3d2fb0, v119 :: v_dual_fmamk_f32 v71, v109, 0x3f3d2fb0, v68
	s_delay_alu instid0(VALU_DEP_4)
	v_dual_add_f32 v134, v157, v136 :: v_dual_mul_f32 v157, 0xbeb8f4ab, v133
	v_add_f32_e32 v58, v70, v58
	v_mul_f32_e32 v70, 0xbf59a7d5, v141
	v_add_f32_e32 v136, v143, v142
	v_dual_fmamk_f32 v142, v117, 0x3f3d2fb0, v158 :: v_dual_add_f32 v59, v79, v59
	v_fmamk_f32 v143, v108, 0x3f2c7751, v156
	v_fmamk_f32 v162, v110, 0x3f7ee86f, v160
	;; [unrolled: 1-line block ×3, first 2 shown]
	s_delay_alu instid0(VALU_DEP_4) | instskip(SKIP_2) | instid1(VALU_DEP_3)
	v_dual_add_f32 v136, v142, v136 :: v_dual_add_f32 v59, v73, v59
	v_fmamk_f32 v142, v121, 0x3f6eb680, v157
	v_dual_add_f32 v143, v57, v143 :: v_dual_add_f32 v58, v76, v58
	v_dual_mul_f32 v76, 0xbf65296c, v120 :: v_dual_add_f32 v59, v75, v59
	s_delay_alu instid0(VALU_DEP_3) | instskip(SKIP_1) | instid1(VALU_DEP_4)
	v_add_f32_e32 v136, v142, v136
	v_fmamk_f32 v142, v125, 0x3dbcf732, v161
	v_dual_add_f32 v162, v162, v143 :: v_dual_mul_f32 v73, 0xbf7ee86f, v124
	v_add_f32_e32 v143, v164, v134
	s_delay_alu instid0(VALU_DEP_3) | instskip(SKIP_1) | instid1(VALU_DEP_4)
	v_dual_add_f32 v59, v65, v59 :: v_dual_add_f32 v134, v142, v136
	v_mul_f32_e32 v164, 0xbf2c7751, v114
	v_dual_add_f32 v136, v165, v162 :: v_dual_mul_f32 v65, 0xbf7ba420, v147
	s_delay_alu instid0(VALU_DEP_3) | instskip(SKIP_3) | instid1(VALU_DEP_4)
	v_add_f32_e32 v59, v67, v59
	v_fmamk_f32 v142, v115, 0x3e3c28d5, v166
	v_mul_f32_e32 v162, 0xbf59a7d5, v132
	v_dual_add_f32 v58, v78, v58 :: v_dual_fmamk_f32 v167, v107, 0x3f3d2fb0, v164
	v_add_f32_e32 v59, v53, v59
	v_fmamk_f32 v67, v130, 0x3e3c28d5, v65
	s_delay_alu instid0(VALU_DEP_3)
	v_dual_mul_f32 v165, 0xbf06c442, v145 :: v_dual_add_f32 v58, v72, v58
	v_mul_f32_e32 v72, 0xbf763a35, v128
	v_add_f32_e32 v136, v142, v136
	v_dual_fmamk_f32 v142, v118, 0xbf06c442, v162 :: v_dual_add_f32 v55, v55, v59
	v_add_f32_e32 v167, v56, v167
	v_mul_f32_e32 v119, 0x3f6eb680, v119
	v_fmac_f32_e32 v156, 0xbf2c7751, v108
	s_delay_alu instid0(VALU_DEP_4) | instskip(SKIP_2) | instid1(VALU_DEP_2)
	v_add_f32_e32 v136, v142, v136
	v_dual_fmamk_f32 v142, v122, 0xbf763a35, v169 :: v_dual_add_f32 v1, v1, v55
	v_dual_add_f32 v167, v170, v167 :: v_dual_fmamk_f32 v174, v129, 0xbf59a7d5, v165
	v_dual_fmac_f32 v159, 0xbf06c442, v130 :: v_dual_add_f32 v136, v142, v136
	s_delay_alu instid0(VALU_DEP_3) | instskip(SKIP_1) | instid1(VALU_DEP_4)
	v_add_f32_e32 v1, v3, v1
	v_fmamk_f32 v170, v111, 0xbf1a4643, v171
	v_dual_add_f32 v142, v174, v134 :: v_dual_fmac_f32 v149, 0x3f763a35, v115
	s_delay_alu instid0(VALU_DEP_3) | instskip(NEXT) | instid1(VALU_DEP_3)
	v_dual_add_f32 v134, v175, v136 :: v_dual_add_f32 v1, v94, v1
	v_dual_add_f32 v167, v170, v167 :: v_dual_fmamk_f32 v170, v113, 0xbf7ba420, v173
	v_fmamk_f32 v175, v108, 0x3eb8f4ab, v119
	v_mul_f32_e32 v174, 0x3f6eb680, v147
	v_fmamk_f32 v180, v125, 0x3ee437d1, v177
	s_delay_alu instid0(VALU_DEP_4) | instskip(SKIP_4) | instid1(VALU_DEP_3)
	v_dual_fmac_f32 v169, 0x3f763a35, v122 :: v_dual_add_f32 v136, v170, v167
	v_fmamk_f32 v167, v117, 0xbf59a7d5, v176
	v_dual_mul_f32 v170, 0x3f763a35, v133 :: v_dual_add_f32 v175, v57, v175
	v_fmamk_f32 v179, v130, 0xbeb8f4ab, v174
	v_mul_f32_e32 v132, 0xbe8c1d8e, v132
	v_dual_add_f32 v136, v167, v136 :: v_dual_fmamk_f32 v167, v121, 0xbe8c1d8e, v170
	s_delay_alu instid0(VALU_DEP_4) | instskip(SKIP_2) | instid1(VALU_DEP_4)
	v_dual_add_f32 v175, v178, v175 :: v_dual_fmamk_f32 v178, v112, 0x3f65296c, v127
	v_mul_f32_e32 v60, 0xbf1a4643, v135
	v_fmac_f32_e32 v119, 0xbeb8f4ab, v108
	v_add_f32_e32 v167, v167, v136
	v_add_f32_e32 v136, v179, v134
	v_add_f32_e32 v58, v74, v58
	v_fmamk_f32 v62, v122, 0x3f4c4adb, v60
	s_delay_alu instid0(VALU_DEP_4)
	v_dual_fmac_f32 v127, 0xbf65296c, v112 :: v_dual_add_f32 v134, v180, v167
	v_add_f32_e32 v167, v178, v175
	v_fmamk_f32 v175, v115, 0x3f7ee86f, v131
	v_fmac_f32_e32 v65, 0xbe3c28d5, v130
	v_add_f32_e32 v58, v64, v58
	v_add_f32_e32 v135, v63, v134
	v_fmamk_f32 v63, v107, 0x3f6eb680, v69
	v_add_f32_e32 v167, v175, v167
	v_fmamk_f32 v175, v118, 0x3f763a35, v132
	v_mul_f32_e32 v64, 0xbf4c4adb, v133
	s_delay_alu instid0(VALU_DEP_4) | instskip(NEXT) | instid1(VALU_DEP_3)
	v_dual_add_f32 v58, v66, v58 :: v_dual_add_f32 v63, v56, v63
	v_dual_fmac_f32 v144, 0xbf65296c, v108 :: v_dual_add_f32 v167, v175, v167
	s_delay_alu instid0(VALU_DEP_3) | instskip(NEXT) | instid1(VALU_DEP_3)
	v_fmamk_f32 v66, v121, 0xbf1a4643, v64
	v_dual_add_f32 v52, v52, v58 :: v_dual_add_f32 v63, v71, v63
	s_delay_alu instid0(VALU_DEP_3) | instskip(NEXT) | instid1(VALU_DEP_4)
	v_dual_fmamk_f32 v71, v111, 0x3ee437d1, v76 :: v_dual_add_f32 v62, v62, v167
	v_add_f32_e32 v3, v57, v144
	s_delay_alu instid0(VALU_DEP_3) | instskip(NEXT) | instid1(VALU_DEP_3)
	v_add_f32_e32 v52, v54, v52
	v_dual_fmac_f32 v146, 0x3e3c28d5, v112 :: v_dual_add_f32 v63, v71, v63
	s_delay_alu instid0(VALU_DEP_4) | instskip(NEXT) | instid1(VALU_DEP_3)
	v_add_f32_e32 v62, v77, v62
	v_dual_fmamk_f32 v71, v113, 0x3dbcf732, v73 :: v_dual_add_f32 v0, v0, v52
	v_fmac_f32_e32 v160, 0xbf7ee86f, v110
	v_fmac_f32_e32 v150, 0x3f2c7751, v118
	s_delay_alu instid0(VALU_DEP_4) | instskip(NEXT) | instid1(VALU_DEP_4)
	v_add_f32_e32 v53, v67, v62
	v_add_f32_e32 v63, v71, v63
	v_fmamk_f32 v71, v117, 0xbe8c1d8e, v72
	v_mul_f32_e32 v62, 0xbe3c28d5, v145
	v_add_f32_e32 v0, v2, v0
	v_add_f32_e32 v2, v140, v3
	s_delay_alu instid0(VALU_DEP_4) | instskip(SKIP_1) | instid1(VALU_DEP_3)
	v_dual_fmac_f32 v152, 0xbeb8f4ab, v122 :: v_dual_add_f32 v63, v71, v63
	v_mul_f32_e32 v71, 0xbf06c442, v137
	v_dual_fmamk_f32 v55, v129, 0xbf7ba420, v62 :: v_dual_add_f32 v2, v146, v2
	v_fmac_f32_e32 v166, 0xbe3c28d5, v115
	s_delay_alu instid0(VALU_DEP_3) | instskip(SKIP_1) | instid1(VALU_DEP_4)
	v_dual_add_f32 v58, v66, v63 :: v_dual_fmamk_f32 v59, v125, 0xbf59a7d5, v71
	v_fmac_f32_e32 v154, 0xbf7ee86f, v126
	v_add_f32_e32 v2, v149, v2
	v_fmac_f32_e32 v162, 0x3f06c442, v118
	v_fmac_f32_e32 v172, 0x3f65296c, v126
	v_add_f32_e32 v54, v59, v58
	v_fma_f32 v58, 0x3dbcf732, v125, -v161
	v_add_f32_e32 v2, v150, v2
	v_fma_f32 v63, 0x3dbcf732, v109, -v168
	s_delay_alu instid0(VALU_DEP_4) | instskip(SKIP_1) | instid1(VALU_DEP_4)
	v_dual_fmac_f32 v131, 0xbf7ee86f, v115 :: v_dual_add_f32 v52, v55, v54
	v_fma_f32 v54, 0x3ee437d1, v107, -v148
	v_dual_add_f32 v55, v57, v156 :: v_dual_add_f32 v2, v152, v2
	v_add_f32_e32 v57, v57, v119
	s_delay_alu instid0(VALU_DEP_3) | instskip(SKIP_1) | instid1(VALU_DEP_4)
	v_dual_add_f32 v0, v93, v0 :: v_dual_add_f32 v3, v56, v54
	v_fma_f32 v54, 0xbf1a4643, v109, -v151
	v_dual_add_f32 v55, v160, v55 :: v_dual_add_f32 v2, v154, v2
	s_delay_alu instid0(VALU_DEP_4) | instskip(NEXT) | instid1(VALU_DEP_3)
	v_add_f32_e32 v57, v123, v57
	v_add_f32_e32 v3, v54, v3
	v_fma_f32 v54, 0xbf7ba420, v111, -v153
	s_delay_alu instid0(VALU_DEP_4) | instskip(NEXT) | instid1(VALU_DEP_4)
	v_add_f32_e32 v55, v163, v55
	v_add_f32_e32 v57, v127, v57
	s_delay_alu instid0(VALU_DEP_3) | instskip(SKIP_1) | instid1(VALU_DEP_4)
	v_add_f32_e32 v3, v54, v3
	v_fma_f32 v54, 0xbe8c1d8e, v113, -v155
	v_add_f32_e32 v55, v166, v55
	s_delay_alu instid0(VALU_DEP_4) | instskip(NEXT) | instid1(VALU_DEP_3)
	v_add_f32_e32 v57, v131, v57
	v_add_f32_e32 v3, v54, v3
	v_fma_f32 v54, 0x3f3d2fb0, v117, -v158
	s_delay_alu instid0(VALU_DEP_4) | instskip(NEXT) | instid1(VALU_DEP_2)
	v_add_f32_e32 v55, v162, v55
	v_add_f32_e32 v3, v54, v3
	v_fma_f32 v54, 0x3f6eb680, v121, -v157
	s_delay_alu instid0(VALU_DEP_3) | instskip(NEXT) | instid1(VALU_DEP_2)
	v_dual_add_f32 v55, v169, v55 :: v_dual_fmac_f32 v132, 0xbf763a35, v118
	v_dual_add_f32 v54, v54, v3 :: v_dual_add_f32 v3, v159, v2
	v_fma_f32 v2, 0x3f3d2fb0, v107, -v164
	s_delay_alu instid0(VALU_DEP_3) | instskip(NEXT) | instid1(VALU_DEP_3)
	v_dual_add_f32 v57, v132, v57 :: v_dual_fmac_f32 v174, 0x3eb8f4ab, v130
	v_add_f32_e32 v54, v58, v54
	v_fma_f32 v58, 0xbf59a7d5, v129, -v165
	s_delay_alu instid0(VALU_DEP_4) | instskip(SKIP_1) | instid1(VALU_DEP_3)
	v_add_f32_e32 v59, v56, v2
	v_fmac_f32_e32 v60, 0xbf4c4adb, v122
	v_add_f32_e32 v2, v58, v54
	v_add_f32_e32 v54, v172, v55
	v_fma_f32 v55, 0x3f6eb680, v107, -v69
	v_add_f32_e32 v58, v63, v59
	v_fma_f32 v59, 0xbf1a4643, v111, -v171
	v_dual_add_f32 v57, v60, v57 :: v_dual_and_b32 v60, 0xffff, v103
	s_delay_alu instid0(VALU_DEP_4) | instskip(SKIP_1) | instid1(VALU_DEP_4)
	v_add_f32_e32 v55, v56, v55
	v_fma_f32 v56, 0x3f3d2fb0, v109, -v68
	v_add_f32_e32 v58, v59, v58
	v_fma_f32 v59, 0xbf7ba420, v113, -v173
	s_delay_alu instid0(VALU_DEP_3) | instskip(SKIP_1) | instid1(VALU_DEP_3)
	v_dual_add_f32 v55, v56, v55 :: v_dual_lshlrev_b32 v60, 3, v60
	v_fma_f32 v56, 0x3ee437d1, v111, -v76
	v_add_f32_e32 v58, v59, v58
	v_fma_f32 v59, 0xbf59a7d5, v117, -v176
	s_delay_alu instid0(VALU_DEP_3) | instskip(SKIP_1) | instid1(VALU_DEP_3)
	v_add_f32_e32 v55, v56, v55
	v_fma_f32 v56, 0x3dbcf732, v113, -v73
	v_add_f32_e32 v58, v59, v58
	v_fma_f32 v59, 0xbe8c1d8e, v121, -v170
	s_delay_alu instid0(VALU_DEP_3) | instskip(SKIP_1) | instid1(VALU_DEP_3)
	v_dual_fmac_f32 v70, 0xbf06c442, v126 :: v_dual_add_f32 v55, v56, v55
	v_fma_f32 v56, 0xbe8c1d8e, v117, -v72
	v_add_f32_e32 v58, v59, v58
	v_fma_f32 v59, 0x3ee437d1, v125, -v177
	s_delay_alu instid0(VALU_DEP_4) | instskip(NEXT) | instid1(VALU_DEP_4)
	v_add_f32_e32 v57, v70, v57
	v_add_f32_e32 v55, v56, v55
	v_fma_f32 v56, 0xbf1a4643, v121, -v64
	s_delay_alu instid0(VALU_DEP_4)
	v_add_f32_e32 v58, v59, v58
	v_fma_f32 v59, 0x3f6eb680, v129, -v61
	v_fma_f32 v61, 0xbf7ba420, v129, -v62
	v_add_f32_e32 v57, v65, v57
	v_add_f32_e32 v55, v56, v55
	v_fma_f32 v56, 0xbf59a7d5, v125, -v71
	s_delay_alu instid0(VALU_DEP_1) | instskip(SKIP_1) | instid1(VALU_DEP_2)
	v_dual_add_f32 v56, v56, v55 :: v_dual_add_f32 v55, v174, v54
	v_add_f32_e32 v54, v59, v58
	v_add_f32_e32 v56, v61, v56
	ds_store_2addr_b64 v60, v[0:1], v[52:53] offset1:1
	ds_store_2addr_b64 v60, v[135:136], v[142:143] offset0:2 offset1:3
	ds_store_2addr_b64 v60, v[138:139], v[99:100] offset0:4 offset1:5
	;; [unrolled: 1-line block ×7, first 2 shown]
	ds_store_b64 v60, v[56:57] offset:128
.LBB0_17:
	s_or_b32 exec_lo, exec_lo, s1
	v_add_nc_u32_e32 v52, 0xd00, v101
	v_add_nc_u32_e32 v53, 0x1b00, v101
	s_waitcnt lgkmcnt(0)
	s_barrier
	buffer_gl0_inv
	ds_load_2addr_b64 v[0:3], v101 offset1:221
	ds_load_2addr_b64 v[56:59], v52 offset0:26 offset1:247
	ds_load_2addr_b64 v[52:55], v53 offset0:20 offset1:241
	ds_load_b64 v[60:61], v101 offset:10608
	s_and_saveexec_b32 s1, s0
	s_cbranch_execz .LBB0_19
; %bb.18:
	v_add_nc_u32_e32 v62, 0xa00, v101
	v_add_nc_u32_e32 v63, 0x1800, v101
	;; [unrolled: 1-line block ×3, first 2 shown]
	ds_load_b64 v[95:96], v101 offset:952
	ds_load_2addr_b64 v[88:91], v62 offset0:20 offset1:241
	ds_load_2addr_b64 v[84:87], v63 offset0:14 offset1:235
	;; [unrolled: 1-line block ×3, first 2 shown]
.LBB0_19:
	s_or_b32 exec_lo, exec_lo, s1
	s_waitcnt lgkmcnt(2)
	v_dual_mul_f32 v62, v25, v3 :: v_dual_mul_f32 v63, v27, v57
	v_mul_f32_e32 v25, v25, v2
	v_mul_f32_e32 v27, v27, v56
	s_waitcnt lgkmcnt(0)
	s_delay_alu instid0(VALU_DEP_3) | instskip(NEXT) | instid1(VALU_DEP_3)
	v_dual_fmac_f32 v62, v24, v2 :: v_dual_fmac_f32 v63, v26, v56
	v_fma_f32 v2, v24, v3, -v25
	v_dual_mul_f32 v24, v23, v53 :: v_dual_mul_f32 v3, v21, v59
	v_mul_f32_e32 v21, v21, v58
	v_fma_f32 v25, v26, v57, -v27
	v_mul_f32_e32 v26, v17, v55
	s_delay_alu instid0(VALU_DEP_4) | instskip(SKIP_2) | instid1(VALU_DEP_3)
	v_dual_mul_f32 v17, v17, v54 :: v_dual_fmac_f32 v24, v22, v52
	v_mul_f32_e32 v23, v23, v52
	s_barrier
	v_fmac_f32_e32 v26, v16, v54
	s_delay_alu instid0(VALU_DEP_3)
	v_fma_f32 v16, v16, v55, -v17
	v_fmac_f32_e32 v3, v20, v58
	v_fma_f32 v20, v20, v59, -v21
	v_mul_f32_e32 v21, v19, v61
	v_mul_f32_e32 v19, v19, v60
	buffer_gl0_inv
	v_fmac_f32_e32 v21, v18, v60
	v_fma_f32 v18, v18, v61, -v19
	v_fma_f32 v19, v22, v53, -v23
	s_delay_alu instid0(VALU_DEP_2) | instskip(SKIP_4) | instid1(VALU_DEP_3)
	v_add_f32_e32 v22, v2, v18
	v_sub_f32_e32 v2, v2, v18
	v_dual_add_f32 v18, v63, v26 :: v_dual_add_f32 v17, v62, v21
	v_dual_sub_f32 v26, v63, v26 :: v_dual_add_f32 v23, v25, v16
	v_sub_f32_e32 v16, v25, v16
	v_sub_f32_e32 v52, v18, v17
	v_sub_f32_e32 v21, v62, v21
	v_add_f32_e32 v25, v3, v24
	v_dual_sub_f32 v3, v24, v3 :: v_dual_add_f32 v24, v23, v22
	s_delay_alu instid0(VALU_DEP_1) | instskip(SKIP_4) | instid1(VALU_DEP_3)
	v_add_f32_e32 v54, v3, v26
	v_sub_f32_e32 v56, v3, v26
	v_dual_sub_f32 v26, v26, v21 :: v_dual_add_f32 v27, v20, v19
	v_dual_sub_f32 v19, v19, v20 :: v_dual_add_f32 v20, v18, v17
	v_sub_f32_e32 v18, v25, v18
	v_dual_sub_f32 v17, v17, v25 :: v_dual_add_f32 v24, v27, v24
	s_delay_alu instid0(VALU_DEP_3) | instskip(NEXT) | instid1(VALU_DEP_4)
	v_add_f32_e32 v55, v19, v16
	v_dual_add_f32 v20, v25, v20 :: v_dual_sub_f32 v53, v23, v22
	v_sub_f32_e32 v22, v22, v27
	v_sub_f32_e32 v23, v27, v23
	s_delay_alu instid0(VALU_DEP_3) | instskip(NEXT) | instid1(VALU_DEP_3)
	v_dual_sub_f32 v3, v21, v3 :: v_dual_add_f32 v0, v0, v20
	v_dual_sub_f32 v57, v19, v16 :: v_dual_mul_f32 v22, 0x3f4a47b2, v22
	s_delay_alu instid0(VALU_DEP_3) | instskip(SKIP_2) | instid1(VALU_DEP_4)
	v_dual_mul_f32 v27, 0x3d64c772, v23 :: v_dual_sub_f32 v16, v16, v2
	v_sub_f32_e32 v19, v2, v19
	v_add_f32_e32 v21, v54, v21
	v_fmamk_f32 v23, v23, 0x3d64c772, v22
	v_mul_f32_e32 v17, 0x3f4a47b2, v17
	v_dual_add_f32 v1, v1, v24 :: v_dual_fmamk_f32 v20, v20, 0xbf955555, v0
	v_mul_f32_e32 v54, 0x3f08b237, v56
	v_fma_f32 v22, 0xbf3bfb3b, v53, -v22
	s_delay_alu instid0(VALU_DEP_4) | instskip(NEXT) | instid1(VALU_DEP_4)
	v_dual_mul_f32 v25, 0x3d64c772, v18 :: v_dual_fmamk_f32 v18, v18, 0x3d64c772, v17
	v_fmamk_f32 v24, v24, 0xbf955555, v1
	v_mul_f32_e32 v56, 0xbf5ff5aa, v26
	v_dual_add_f32 v2, v55, v2 :: v_dual_mul_f32 v55, 0x3f08b237, v57
	s_delay_alu instid0(VALU_DEP_4)
	v_fma_f32 v25, 0x3f3bfb3b, v52, -v25
	v_fma_f32 v27, 0x3f3bfb3b, v53, -v27
	;; [unrolled: 1-line block ×3, first 2 shown]
	v_add_f32_e32 v58, v23, v24
	v_fma_f32 v17, 0xbf3bfb3b, v52, -v17
	v_dual_fmamk_f32 v52, v3, 0xbeae86e6, v54 :: v_dual_add_f32 v23, v25, v20
	v_fma_f32 v54, 0xbf5ff5aa, v16, -v55
	v_add_f32_e32 v25, v27, v24
	s_delay_alu instid0(VALU_DEP_4)
	v_dual_add_f32 v27, v17, v20 :: v_dual_fmac_f32 v26, 0xbee1c552, v21
	v_mul_f32_e32 v57, 0xbf5ff5aa, v16
	v_fmac_f32_e32 v52, 0xbee1c552, v21
	v_fmac_f32_e32 v54, 0xbee1c552, v2
	v_fmamk_f32 v53, v19, 0xbeae86e6, v55
	v_fma_f32 v55, 0x3eae86e6, v3, -v56
	v_fma_f32 v56, 0x3eae86e6, v19, -v57
	v_add_f32_e32 v57, v18, v20
	v_sub_f32_e32 v3, v58, v52
	s_delay_alu instid0(VALU_DEP_4) | instskip(NEXT) | instid1(VALU_DEP_4)
	v_dual_add_f32 v20, v54, v23 :: v_dual_fmac_f32 v55, 0xbee1c552, v21
	v_fmac_f32_e32 v56, 0xbee1c552, v2
	v_dual_fmac_f32 v53, 0xbee1c552, v2 :: v_dual_add_f32 v24, v22, v24
	v_dual_sub_f32 v18, v23, v54 :: v_dual_add_f32 v19, v26, v25
	s_delay_alu instid0(VALU_DEP_3) | instskip(NEXT) | instid1(VALU_DEP_3)
	v_sub_f32_e32 v22, v27, v56
	v_add_f32_e32 v2, v53, v57
	v_add_f32_e32 v16, v56, v27
	v_sub_f32_e32 v17, v24, v55
	v_sub_f32_e32 v21, v25, v26
	v_dual_add_f32 v23, v55, v24 :: v_dual_sub_f32 v24, v57, v53
	v_add_f32_e32 v25, v52, v58
	ds_store_2addr_b64 v105, v[0:1], v[2:3] offset1:17
	ds_store_2addr_b64 v105, v[16:17], v[18:19] offset0:34 offset1:51
	ds_store_2addr_b64 v105, v[20:21], v[22:23] offset0:68 offset1:85
	ds_store_b64 v105, v[24:25] offset:816
	s_and_saveexec_b32 s1, s0
	s_cbranch_execz .LBB0_21
; %bb.20:
	v_dual_mul_f32 v0, v9, v89 :: v_dual_mul_f32 v1, v7, v87
	v_dual_mul_f32 v2, v5, v85 :: v_dual_mul_f32 v3, v11, v91
	;; [unrolled: 1-line block ×3, first 2 shown]
	s_delay_alu instid0(VALU_DEP_2) | instskip(NEXT) | instid1(VALU_DEP_2)
	v_dual_fmac_f32 v1, v6, v86 :: v_dual_fmac_f32 v2, v4, v84
	v_dual_fmac_f32 v3, v10, v90 :: v_dual_fmac_f32 v16, v12, v80
	s_delay_alu instid0(VALU_DEP_3) | instskip(NEXT) | instid1(VALU_DEP_3)
	v_dual_fmac_f32 v0, v8, v88 :: v_dual_fmac_f32 v17, v14, v82
	v_sub_f32_e32 v18, v1, v2
	v_mul_f32_e32 v11, v11, v90
	s_delay_alu instid0(VALU_DEP_4)
	v_dual_sub_f32 v19, v3, v16 :: v_dual_add_f32 v16, v16, v3
	v_mul_f32_e32 v5, v5, v84
	v_dual_mul_f32 v7, v7, v86 :: v_dual_add_f32 v2, v2, v1
	v_dual_mul_f32 v15, v15, v82 :: v_dual_sub_f32 v20, v0, v17
	v_fma_f32 v10, v10, v91, -v11
	v_add_f32_e32 v11, v18, v19
	v_fma_f32 v4, v4, v85, -v5
	v_fma_f32 v5, v6, v87, -v7
	;; [unrolled: 1-line block ×3, first 2 shown]
	v_add_f32_e32 v17, v17, v0
	v_add_f32_e32 v7, v11, v20
	s_delay_alu instid0(VALU_DEP_4) | instskip(SKIP_2) | instid1(VALU_DEP_2)
	v_dual_add_f32 v11, v4, v5 :: v_dual_sub_f32 v4, v5, v4
	v_mul_f32_e32 v9, v9, v88
	v_mul_f32_e32 v13, v13, v80
	v_fma_f32 v8, v8, v89, -v9
	s_delay_alu instid0(VALU_DEP_2) | instskip(SKIP_4) | instid1(VALU_DEP_4)
	v_fma_f32 v9, v12, v81, -v13
	v_sub_f32_e32 v21, v18, v19
	v_sub_f32_e32 v15, v20, v18
	;; [unrolled: 1-line block ×3, first 2 shown]
	v_add_f32_e32 v12, v14, v8
	v_dual_add_f32 v6, v9, v10 :: v_dual_mul_f32 v21, 0x3f08b237, v21
	v_dual_sub_f32 v5, v10, v9 :: v_dual_sub_f32 v8, v8, v14
	s_delay_alu instid0(VALU_DEP_3) | instskip(NEXT) | instid1(VALU_DEP_3)
	v_sub_f32_e32 v22, v12, v11
	v_add_f32_e32 v18, v6, v12
	v_sub_f32_e32 v0, v11, v6
	s_delay_alu instid0(VALU_DEP_4) | instskip(NEXT) | instid1(VALU_DEP_3)
	v_dual_sub_f32 v10, v4, v5 :: v_dual_fmamk_f32 v13, v15, 0xbeae86e6, v21
	v_dual_sub_f32 v25, v8, v4 :: v_dual_add_f32 v18, v11, v18
	v_mul_f32_e32 v11, 0x3f4a47b2, v22
	s_delay_alu instid0(VALU_DEP_4) | instskip(NEXT) | instid1(VALU_DEP_4)
	v_mul_f32_e32 v22, 0x3d64c772, v0
	v_mul_f32_e32 v10, 0x3f08b237, v10
	v_add_f32_e32 v4, v4, v5
	s_delay_alu instid0(VALU_DEP_4) | instskip(SKIP_1) | instid1(VALU_DEP_1)
	v_fmamk_f32 v23, v0, 0x3d64c772, v11
	v_dual_add_f32 v3, v16, v17 :: v_dual_sub_f32 v0, v17, v2
	v_add_f32_e32 v3, v2, v3
	s_delay_alu instid0(VALU_DEP_2) | instskip(SKIP_1) | instid1(VALU_DEP_3)
	v_mul_f32_e32 v9, 0x3f4a47b2, v0
	v_sub_f32_e32 v2, v2, v16
	v_dual_add_f32 v0, v95, v3 :: v_dual_add_f32 v1, v96, v18
	s_delay_alu instid0(VALU_DEP_1) | instskip(NEXT) | instid1(VALU_DEP_2)
	v_fmamk_f32 v24, v3, 0xbf955555, v0
	v_dual_fmamk_f32 v18, v18, 0xbf955555, v1 :: v_dual_sub_f32 v5, v5, v8
	v_dual_add_f32 v4, v4, v8 :: v_dual_fmac_f32 v13, 0xbee1c552, v7
	s_delay_alu instid0(VALU_DEP_2) | instskip(NEXT) | instid1(VALU_DEP_3)
	v_add_f32_e32 v14, v23, v18
	v_mul_f32_e32 v8, 0xbf5ff5aa, v5
	v_mul_f32_e32 v26, 0xbf5ff5aa, v19
	v_dual_fmamk_f32 v23, v2, 0x3d64c772, v9 :: v_dual_mul_f32 v2, 0x3d64c772, v2
	s_delay_alu instid0(VALU_DEP_2)
	v_fma_f32 v15, 0x3eae86e6, v15, -v26
	v_sub_f32_e32 v6, v6, v12
	v_sub_f32_e32 v12, v16, v17
	v_fma_f32 v16, 0x3eae86e6, v25, -v8
	v_fma_f32 v8, 0xbf5ff5aa, v19, -v21
	v_fmac_f32_e32 v15, 0xbee1c552, v7
	v_fma_f32 v11, 0xbf3bfb3b, v6, -v11
	v_fma_f32 v6, 0x3f3bfb3b, v6, -v22
	v_dual_add_f32 v3, v13, v14 :: v_dual_add_f32 v20, v23, v24
	v_fmamk_f32 v23, v25, 0xbeae86e6, v10
	v_fma_f32 v9, 0xbf3bfb3b, v12, -v9
	s_delay_alu instid0(VALU_DEP_4) | instskip(SKIP_4) | instid1(VALU_DEP_4)
	v_add_f32_e32 v6, v6, v18
	v_add_f32_e32 v11, v11, v18
	v_fma_f32 v2, 0x3f3bfb3b, v12, -v2
	v_fmac_f32_e32 v8, 0xbee1c552, v7
	v_fma_f32 v19, 0xbf5ff5aa, v5, -v10
	v_dual_fmac_f32 v16, 0xbee1c552, v4 :: v_dual_add_f32 v5, v15, v11
	s_delay_alu instid0(VALU_DEP_4) | instskip(NEXT) | instid1(VALU_DEP_4)
	v_add_f32_e32 v2, v2, v24
	v_sub_f32_e32 v7, v6, v8
	s_delay_alu instid0(VALU_DEP_4)
	v_fmac_f32_e32 v19, 0xbee1c552, v4
	v_add_f32_e32 v17, v9, v24
	v_add_f32_e32 v9, v8, v6
	v_mul_u32_u24_e32 v6, 0x77, v106
	v_sub_f32_e32 v13, v14, v13
	v_sub_f32_e32 v11, v11, v15
	s_delay_alu instid0(VALU_DEP_3) | instskip(SKIP_4) | instid1(VALU_DEP_3)
	v_add_lshl_u32 v14, v6, v104, 3
	v_add_f32_e32 v6, v19, v2
	v_dual_add_f32 v10, v16, v17 :: v_dual_fmac_f32 v23, 0xbee1c552, v4
	v_sub_f32_e32 v8, v2, v19
	v_sub_f32_e32 v4, v17, v16
	v_add_f32_e32 v12, v23, v20
	v_sub_f32_e32 v2, v20, v23
	ds_store_2addr_b64 v14, v[0:1], v[12:13] offset1:17
	ds_store_2addr_b64 v14, v[10:11], v[8:9] offset0:34 offset1:51
	ds_store_2addr_b64 v14, v[6:7], v[4:5] offset0:68 offset1:85
	ds_store_b64 v14, v[2:3] offset:816
.LBB0_21:
	s_or_b32 exec_lo, exec_lo, s1
	s_waitcnt lgkmcnt(0)
	s_barrier
	buffer_gl0_inv
	ds_load_2addr_b64 v[7:10], v101 offset0:119 offset1:238
	v_add_nc_u32_e32 v6, 0x800, v101
	v_add_nc_u32_e32 v5, 0x1000, v101
	ds_load_b64 v[55:56], v101
	v_add_nc_u32_e32 v4, 0x1800, v101
	s_waitcnt lgkmcnt(1)
	v_mul_f32_e32 v0, v49, v8
	ds_load_2addr_b64 v[16:19], v5 offset0:83 offset1:202
	v_mul_f32_e32 v1, v49, v7
	v_mul_f32_e32 v49, v51, v10
	ds_load_2addr_b64 v[12:15], v6 offset0:101 offset1:220
	v_dual_fmac_f32 v0, v48, v7 :: v_dual_add_nc_u32 v3, 0x2000, v101
	ds_load_2addr_b64 v[20:23], v4 offset0:65 offset1:184
	ds_load_2addr_b64 v[24:27], v3 offset0:47 offset1:166
	v_mul_f32_e32 v11, v51, v9
	v_add_nc_u32_e32 v2, 0x2800, v101
	v_fma_f32 v1, v48, v8, -v1
	v_fmac_f32_e32 v49, v50, v9
	s_delay_alu instid0(VALU_DEP_4)
	v_fma_f32 v48, v50, v10, -v11
	s_waitcnt lgkmcnt(3)
	v_dual_add_f32 v10, v55, v0 :: v_dual_mul_f32 v11, v37, v17
	s_waitcnt lgkmcnt(2)
	v_mul_f32_e32 v50, v45, v13
	v_mul_f32_e32 v7, v45, v12
	v_mul_f32_e32 v45, v47, v15
	v_dual_mul_f32 v8, v47, v14 :: v_dual_mul_f32 v9, v37, v16
	v_add_f32_e32 v10, v10, v49
	v_fmac_f32_e32 v50, v44, v12
	v_fma_f32 v13, v44, v13, -v7
	v_mul_f32_e32 v7, v39, v19
	ds_load_2addr_b64 v[51:54], v2 offset0:29 offset1:148
	v_fmac_f32_e32 v45, v46, v14
	v_fma_f32 v14, v46, v15, -v8
	s_waitcnt lgkmcnt(2)
	v_dual_mul_f32 v8, v29, v21 :: v_dual_fmac_f32 v11, v36, v16
	v_fma_f32 v12, v36, v17, -v9
	v_mul_f32_e32 v9, v39, v18
	v_dual_add_f32 v15, v56, v1 :: v_dual_mul_f32 v16, v29, v20
	v_fmac_f32_e32 v7, v38, v18
	v_add_f32_e32 v18, v10, v50
	v_fmac_f32_e32 v8, v28, v20
	s_waitcnt lgkmcnt(1)
	v_mul_f32_e32 v20, v41, v24
	v_fma_f32 v10, v28, v21, -v16
	v_mul_f32_e32 v16, v31, v22
	v_dual_add_f32 v15, v15, v48 :: v_dual_add_f32 v18, v18, v45
	v_fma_f32 v9, v38, v19, -v9
	v_mul_f32_e32 v19, v41, v25
	v_fma_f32 v20, v40, v25, -v20
	s_delay_alu instid0(VALU_DEP_4) | instskip(SKIP_3) | instid1(VALU_DEP_3)
	v_dual_add_f32 v15, v15, v13 :: v_dual_add_f32 v18, v18, v11
	s_waitcnt lgkmcnt(0)
	v_mul_f32_e32 v25, v35, v54
	v_fma_f32 v16, v30, v23, -v16
	v_dual_add_f32 v15, v15, v14 :: v_dual_add_f32 v18, v18, v7
	v_mul_f32_e32 v17, v31, v23
	s_delay_alu instid0(VALU_DEP_4) | instskip(NEXT) | instid1(VALU_DEP_3)
	v_fmac_f32_e32 v25, v34, v53
	v_dual_mul_f32 v21, v43, v27 :: v_dual_add_f32 v18, v18, v8
	s_delay_alu instid0(VALU_DEP_3) | instskip(SKIP_2) | instid1(VALU_DEP_3)
	v_fmac_f32_e32 v17, v30, v22
	v_dual_mul_f32 v22, v43, v26 :: v_dual_fmac_f32 v19, v40, v24
	v_mul_f32_e32 v24, v35, v53
	v_dual_add_f32 v15, v15, v12 :: v_dual_add_f32 v18, v18, v17
	v_add_f32_e32 v28, v0, v25
	s_delay_alu instid0(VALU_DEP_4) | instskip(NEXT) | instid1(VALU_DEP_4)
	v_fma_f32 v22, v42, v27, -v22
	v_fma_f32 v24, v34, v54, -v24
	v_dual_fmac_f32 v21, v42, v26 :: v_dual_mul_f32 v26, v33, v51
	v_dual_add_f32 v15, v15, v9 :: v_dual_add_f32 v18, v18, v19
	s_delay_alu instid0(VALU_DEP_3) | instskip(SKIP_2) | instid1(VALU_DEP_4)
	v_add_f32_e32 v30, v1, v24
	v_mul_f32_e32 v23, v33, v52
	v_sub_f32_e32 v27, v1, v24
	v_dual_add_f32 v15, v15, v10 :: v_dual_add_f32 v18, v18, v21
	v_fma_f32 v26, v32, v52, -v26
	s_delay_alu instid0(VALU_DEP_4) | instskip(SKIP_2) | instid1(VALU_DEP_3)
	v_dual_fmac_f32 v23, v32, v51 :: v_dual_mul_f32 v32, 0x3f62ad3f, v30
	v_mul_f32_e32 v37, 0x3df6dbef, v30
	v_mul_f32_e32 v29, 0xbeedf032, v27
	v_dual_mul_f32 v44, 0xbf3f9e67, v30 :: v_dual_add_f32 v1, v18, v23
	v_dual_sub_f32 v18, v0, v25 :: v_dual_add_f32 v15, v15, v16
	s_delay_alu instid0(VALU_DEP_3) | instskip(SKIP_1) | instid1(VALU_DEP_3)
	v_fmamk_f32 v31, v28, 0x3f62ad3f, v29
	v_sub_f32_e32 v52, v48, v26
	v_dual_add_f32 v0, v1, v25 :: v_dual_fmamk_f32 v39, v18, 0x3f7e222b, v37
	s_delay_alu instid0(VALU_DEP_4) | instskip(SKIP_2) | instid1(VALU_DEP_4)
	v_add_f32_e32 v15, v15, v20
	v_mul_f32_e32 v41, 0xbeb58ec6, v30
	v_fmamk_f32 v47, v18, 0x3f29c268, v44
	v_dual_fmac_f32 v44, 0xbf29c268, v18 :: v_dual_add_f32 v39, v56, v39
	s_delay_alu instid0(VALU_DEP_4) | instskip(NEXT) | instid1(VALU_DEP_4)
	v_dual_add_f32 v15, v15, v22 :: v_dual_add_f32 v54, v49, v23
	v_fmamk_f32 v42, v18, 0x3f6f5d39, v41
	s_delay_alu instid0(VALU_DEP_2) | instskip(SKIP_1) | instid1(VALU_DEP_3)
	v_dual_add_f32 v44, v56, v44 :: v_dual_add_f32 v15, v15, v26
	v_add_f32_e32 v26, v48, v26
	v_dual_add_f32 v42, v56, v42 :: v_dual_mul_f32 v57, 0xbf52af12, v52
	s_delay_alu instid0(VALU_DEP_3)
	v_add_f32_e32 v1, v15, v24
	v_add_f32_e32 v15, v55, v31
	v_mul_f32_e32 v31, 0x3f116cb1, v30
	v_mul_f32_e32 v30, 0xbf788fa5, v30
	v_fmamk_f32 v24, v18, 0x3eedf032, v32
	v_fmac_f32_e32 v32, 0xbeedf032, v18
	s_delay_alu instid0(VALU_DEP_4)
	v_fmamk_f32 v34, v18, 0x3f52af12, v31
	v_mul_f32_e32 v38, 0xbf6f5d39, v27
	v_fmac_f32_e32 v31, 0xbf52af12, v18
	v_fmamk_f32 v53, v18, 0x3e750f2a, v30
	v_fmac_f32_e32 v30, 0xbe750f2a, v18
	v_mul_f32_e32 v43, 0xbf29c268, v27
	v_fmamk_f32 v40, v28, 0xbeb58ec6, v38
	v_mul_f32_e32 v25, 0xbf52af12, v27
	v_fma_f32 v38, 0xbeb58ec6, v28, -v38
	v_add_f32_e32 v31, v56, v31
	v_add_f32_e32 v30, v56, v30
	s_delay_alu instid0(VALU_DEP_4) | instskip(NEXT) | instid1(VALU_DEP_4)
	v_dual_add_f32 v40, v55, v40 :: v_dual_fmamk_f32 v33, v28, 0x3f116cb1, v25
	v_add_f32_e32 v38, v55, v38
	v_fma_f32 v25, 0x3f116cb1, v28, -v25
	v_fmamk_f32 v46, v28, 0xbf3f9e67, v43
	v_mul_f32_e32 v35, 0xbf7e222b, v27
	v_dual_add_f32 v33, v55, v33 :: v_dual_add_f32 v34, v56, v34
	s_delay_alu instid0(VALU_DEP_4)
	v_add_f32_e32 v25, v55, v25
	v_fma_f32 v29, 0x3f62ad3f, v28, -v29
	v_add_f32_e32 v46, v55, v46
	v_fmamk_f32 v36, v28, 0x3df6dbef, v35
	v_fma_f32 v35, 0x3df6dbef, v28, -v35
	v_dual_fmac_f32 v37, 0xbf7e222b, v18 :: v_dual_add_f32 v48, v56, v53
	v_add_f32_e32 v29, v55, v29
	v_mul_f32_e32 v27, 0xbe750f2a, v27
	s_delay_alu instid0(VALU_DEP_4) | instskip(NEXT) | instid1(VALU_DEP_4)
	v_dual_add_f32 v35, v55, v35 :: v_dual_add_f32 v32, v56, v32
	v_dual_add_f32 v36, v55, v36 :: v_dual_add_f32 v37, v56, v37
	v_fmac_f32_e32 v41, 0xbf6f5d39, v18
	v_fma_f32 v43, 0xbf3f9e67, v28, -v43
	v_fmamk_f32 v51, v28, 0xbf788fa5, v27
	v_fma_f32 v27, 0xbf788fa5, v28, -v27
	v_dual_sub_f32 v18, v49, v23 :: v_dual_fmamk_f32 v23, v54, 0x3f116cb1, v57
	v_mul_f32_e32 v28, 0x3f116cb1, v26
	v_add_f32_e32 v24, v56, v24
	v_mul_f32_e32 v49, 0xbf6f5d39, v52
	v_fma_f32 v53, 0x3f116cb1, v54, -v57
	v_add_f32_e32 v15, v23, v15
	v_fmamk_f32 v23, v18, 0x3f52af12, v28
	v_dual_add_f32 v43, v55, v43 :: v_dual_fmac_f32 v28, 0xbf52af12, v18
	s_delay_alu instid0(VALU_DEP_4) | instskip(SKIP_1) | instid1(VALU_DEP_4)
	v_add_f32_e32 v29, v53, v29
	v_mul_f32_e32 v53, 0xbe750f2a, v52
	v_dual_add_f32 v23, v23, v24 :: v_dual_fmamk_f32 v24, v54, 0xbeb58ec6, v49
	s_delay_alu instid0(VALU_DEP_4) | instskip(NEXT) | instid1(VALU_DEP_2)
	v_dual_add_f32 v51, v55, v51 :: v_dual_add_f32 v28, v28, v32
	v_add_f32_e32 v24, v24, v33
	v_add_f32_e32 v47, v56, v47
	v_fma_f32 v33, 0xbeb58ec6, v54, -v49
	v_mul_f32_e32 v49, 0xbf788fa5, v26
	v_add_f32_e32 v27, v55, v27
	v_mul_f32_e32 v55, 0xbeb58ec6, v26
	v_dual_add_f32 v41, v56, v41 :: v_dual_mul_f32 v56, 0xbf3f9e67, v26
	s_delay_alu instid0(VALU_DEP_2) | instskip(SKIP_1) | instid1(VALU_DEP_2)
	v_fmamk_f32 v32, v18, 0x3f6f5d39, v55
	v_fmac_f32_e32 v55, 0xbf6f5d39, v18
	v_add_f32_e32 v32, v32, v34
	v_fmamk_f32 v34, v54, 0xbf788fa5, v53
	v_fma_f32 v53, 0xbf788fa5, v54, -v53
	s_delay_alu instid0(VALU_DEP_2) | instskip(SKIP_2) | instid1(VALU_DEP_4)
	v_add_f32_e32 v34, v34, v36
	v_fmamk_f32 v36, v18, 0x3e750f2a, v49
	v_fmac_f32_e32 v49, 0xbe750f2a, v18
	v_add_f32_e32 v35, v53, v35
	v_mul_f32_e32 v53, 0x3df6dbef, v26
	v_add_f32_e32 v31, v55, v31
	s_delay_alu instid0(VALU_DEP_4)
	v_dual_add_f32 v36, v36, v39 :: v_dual_add_f32 v37, v49, v37
	v_mul_f32_e32 v26, 0x3f62ad3f, v26
	v_mul_f32_e32 v49, 0x3f7e222b, v52
	v_add_f32_e32 v25, v33, v25
	v_mul_f32_e32 v33, 0x3f29c268, v52
	v_mul_f32_e32 v52, 0x3eedf032, v52
	s_delay_alu instid0(VALU_DEP_2) | instskip(NEXT) | instid1(VALU_DEP_1)
	v_fmamk_f32 v55, v54, 0xbf3f9e67, v33
	v_dual_add_f32 v39, v55, v40 :: v_dual_fmamk_f32 v40, v18, 0xbf29c268, v56
	v_fmac_f32_e32 v56, 0x3f29c268, v18
	s_delay_alu instid0(VALU_DEP_2) | instskip(SKIP_1) | instid1(VALU_DEP_1)
	v_add_f32_e32 v40, v40, v42
	v_fmamk_f32 v42, v54, 0x3df6dbef, v49
	v_add_f32_e32 v42, v42, v46
	v_fma_f32 v46, 0x3df6dbef, v54, -v49
	v_fmamk_f32 v49, v18, 0xbeedf032, v26
	s_delay_alu instid0(VALU_DEP_2) | instskip(SKIP_2) | instid1(VALU_DEP_3)
	v_dual_fmac_f32 v26, 0x3eedf032, v18 :: v_dual_add_f32 v43, v46, v43
	v_sub_f32_e32 v46, v13, v22
	v_add_f32_e32 v13, v13, v22
	v_add_f32_e32 v26, v26, v30
	v_fma_f32 v33, 0xbf3f9e67, v54, -v33
	v_add_f32_e32 v48, v49, v48
	v_fma_f32 v22, 0x3f62ad3f, v54, -v52
	v_mul_f32_e32 v49, 0xbf788fa5, v13
	s_delay_alu instid0(VALU_DEP_4) | instskip(SKIP_1) | instid1(VALU_DEP_4)
	v_dual_add_f32 v33, v33, v38 :: v_dual_fmamk_f32 v38, v18, 0xbf7e222b, v53
	v_dual_fmac_f32 v53, 0x3f7e222b, v18 :: v_dual_sub_f32 v18, v50, v21
	v_dual_add_f32 v22, v22, v27 :: v_dual_mul_f32 v27, 0xbe750f2a, v46
	s_delay_alu instid0(VALU_DEP_3) | instskip(NEXT) | instid1(VALU_DEP_3)
	v_add_f32_e32 v38, v38, v47
	v_dual_fmamk_f32 v47, v54, 0x3f62ad3f, v52 :: v_dual_add_f32 v44, v53, v44
	v_mul_f32_e32 v53, 0xbf7e222b, v46
	s_delay_alu instid0(VALU_DEP_2) | instskip(SKIP_3) | instid1(VALU_DEP_3)
	v_add_f32_e32 v47, v47, v51
	v_add_f32_e32 v51, v50, v21
	v_mul_f32_e32 v50, 0x3df6dbef, v13
	v_add_f32_e32 v41, v56, v41
	v_fmamk_f32 v21, v51, 0x3df6dbef, v53
	v_fma_f32 v30, 0x3df6dbef, v51, -v53
	s_delay_alu instid0(VALU_DEP_2) | instskip(SKIP_1) | instid1(VALU_DEP_3)
	v_add_f32_e32 v15, v21, v15
	v_fmamk_f32 v21, v18, 0x3f7e222b, v50
	v_dual_fmac_f32 v50, 0xbf7e222b, v18 :: v_dual_add_f32 v29, v30, v29
	v_fmamk_f32 v30, v18, 0x3e750f2a, v49
	v_fmac_f32_e32 v49, 0xbe750f2a, v18
	s_delay_alu instid0(VALU_DEP_4) | instskip(NEXT) | instid1(VALU_DEP_4)
	v_add_f32_e32 v21, v21, v23
	v_dual_fmamk_f32 v23, v51, 0xbf788fa5, v27 :: v_dual_add_f32 v28, v50, v28
	s_delay_alu instid0(VALU_DEP_1) | instskip(SKIP_1) | instid1(VALU_DEP_2)
	v_dual_mul_f32 v50, 0x3f6f5d39, v46 :: v_dual_add_f32 v23, v23, v24
	v_fma_f32 v24, 0xbf788fa5, v51, -v27
	v_dual_add_f32 v27, v30, v32 :: v_dual_fmamk_f32 v30, v51, 0xbeb58ec6, v50
	v_mul_f32_e32 v32, 0xbeb58ec6, v13
	v_mul_f32_e32 v52, 0x3f62ad3f, v13
	s_delay_alu instid0(VALU_DEP_4) | instskip(NEXT) | instid1(VALU_DEP_4)
	v_add_f32_e32 v24, v24, v25
	v_add_f32_e32 v30, v30, v34
	s_delay_alu instid0(VALU_DEP_4) | instskip(SKIP_2) | instid1(VALU_DEP_3)
	v_fmamk_f32 v34, v18, 0xbf6f5d39, v32
	v_dual_fmac_f32 v32, 0x3f6f5d39, v18 :: v_dual_add_f32 v25, v49, v31
	v_fma_f32 v49, 0xbeb58ec6, v51, -v50
	v_add_f32_e32 v34, v34, v36
	s_delay_alu instid0(VALU_DEP_3)
	v_dual_add_f32 v32, v32, v37 :: v_dual_fmamk_f32 v37, v18, 0xbeedf032, v52
	v_fmac_f32_e32 v52, 0x3eedf032, v18
	v_mul_f32_e32 v31, 0x3eedf032, v46
	v_add_f32_e32 v35, v49, v35
	v_mul_f32_e32 v49, 0x3f116cb1, v13
	v_add_f32_e32 v37, v37, v40
	v_mul_f32_e32 v13, 0xbf3f9e67, v13
	v_fmamk_f32 v50, v51, 0x3f62ad3f, v31
	v_fma_f32 v31, 0x3f62ad3f, v51, -v31
	s_delay_alu instid0(VALU_DEP_2) | instskip(SKIP_1) | instid1(VALU_DEP_2)
	v_dual_add_f32 v36, v50, v39 :: v_dual_mul_f32 v39, 0xbf52af12, v46
	v_mul_f32_e32 v46, 0xbf29c268, v46
	v_fmamk_f32 v40, v51, 0x3f116cb1, v39
	v_fma_f32 v39, 0x3f116cb1, v51, -v39
	s_delay_alu instid0(VALU_DEP_2)
	v_add_f32_e32 v40, v40, v42
	v_sub_f32_e32 v42, v14, v20
	v_dual_add_f32 v14, v14, v20 :: v_dual_add_f32 v31, v31, v33
	v_fmamk_f32 v33, v18, 0x3f52af12, v49
	v_fmac_f32_e32 v49, 0xbf52af12, v18
	v_add_f32_e32 v39, v39, v43
	v_fma_f32 v20, 0xbf3f9e67, v51, -v46
	s_delay_alu instid0(VALU_DEP_4) | instskip(SKIP_1) | instid1(VALU_DEP_3)
	v_dual_add_f32 v33, v33, v38 :: v_dual_fmamk_f32 v38, v51, 0xbf3f9e67, v46
	v_mul_f32_e32 v46, 0xbf3f9e67, v14
	v_add_f32_e32 v20, v20, v22
	v_mul_f32_e32 v22, 0x3f29c268, v42
	s_delay_alu instid0(VALU_DEP_4)
	v_add_f32_e32 v38, v38, v47
	v_add_f32_e32 v47, v45, v19
	v_dual_add_f32 v43, v49, v44 :: v_dual_fmamk_f32 v44, v18, 0x3f29c268, v13
	v_mul_f32_e32 v49, 0xbf6f5d39, v42
	v_dual_fmac_f32 v13, 0xbf29c268, v18 :: v_dual_sub_f32 v18, v45, v19
	v_add_f32_e32 v41, v52, v41
	s_delay_alu instid0(VALU_DEP_4) | instskip(SKIP_4) | instid1(VALU_DEP_3)
	v_dual_add_f32 v44, v44, v48 :: v_dual_mul_f32 v45, 0xbeb58ec6, v14
	v_mul_f32_e32 v48, 0x3df6dbef, v14
	v_fmamk_f32 v19, v47, 0xbeb58ec6, v49
	v_add_f32_e32 v13, v13, v26
	v_fma_f32 v26, 0xbeb58ec6, v47, -v49
	v_add_f32_e32 v15, v19, v15
	v_fmamk_f32 v19, v18, 0x3f6f5d39, v45
	s_delay_alu instid0(VALU_DEP_3) | instskip(SKIP_1) | instid1(VALU_DEP_3)
	v_dual_fmac_f32 v45, 0xbf6f5d39, v18 :: v_dual_add_f32 v26, v26, v29
	v_fmamk_f32 v29, v18, 0xbf29c268, v46
	v_dual_fmac_f32 v46, 0x3f29c268, v18 :: v_dual_add_f32 v19, v19, v21
	s_delay_alu instid0(VALU_DEP_3) | instskip(SKIP_2) | instid1(VALU_DEP_3)
	v_dual_fmamk_f32 v21, v47, 0xbf3f9e67, v22 :: v_dual_add_f32 v28, v45, v28
	v_mul_f32_e32 v45, 0x3eedf032, v42
	v_fma_f32 v22, 0xbf3f9e67, v47, -v22
	v_add_f32_e32 v21, v21, v23
	v_add_f32_e32 v23, v29, v27
	s_delay_alu instid0(VALU_DEP_3) | instskip(SKIP_3) | instid1(VALU_DEP_3)
	v_dual_mul_f32 v29, 0x3f62ad3f, v14 :: v_dual_add_f32 v22, v22, v24
	v_dual_add_f32 v24, v46, v25 :: v_dual_fmamk_f32 v27, v47, 0x3f62ad3f, v45
	v_mul_f32_e32 v25, 0xbf7e222b, v42
	v_fma_f32 v45, 0x3f62ad3f, v47, -v45
	v_dual_add_f32 v27, v27, v30 :: v_dual_fmamk_f32 v30, v18, 0xbeedf032, v29
	v_fmac_f32_e32 v29, 0x3eedf032, v18
	s_delay_alu instid0(VALU_DEP_4) | instskip(SKIP_1) | instid1(VALU_DEP_4)
	v_fmamk_f32 v46, v47, 0x3df6dbef, v25
	v_fma_f32 v25, 0x3df6dbef, v47, -v25
	v_add_f32_e32 v30, v30, v34
	v_dual_add_f32 v34, v45, v35 :: v_dual_fmamk_f32 v35, v18, 0x3f7e222b, v48
	v_mul_f32_e32 v45, 0xbf788fa5, v14
	v_dual_mul_f32 v14, 0x3f116cb1, v14 :: v_dual_add_f32 v29, v29, v32
	v_add_f32_e32 v32, v46, v36
	s_delay_alu instid0(VALU_DEP_4) | instskip(SKIP_2) | instid1(VALU_DEP_3)
	v_dual_mul_f32 v36, 0x3e750f2a, v42 :: v_dual_add_f32 v35, v35, v37
	v_mul_f32_e32 v42, 0x3f52af12, v42
	v_fmac_f32_e32 v48, 0xbf7e222b, v18
	v_fmamk_f32 v37, v47, 0xbf788fa5, v36
	v_fma_f32 v36, 0xbf788fa5, v47, -v36
	s_delay_alu instid0(VALU_DEP_1)
	v_add_f32_e32 v36, v36, v39
	v_sub_f32_e32 v39, v12, v16
	v_dual_add_f32 v12, v12, v16 :: v_dual_add_f32 v25, v25, v31
	v_fmamk_f32 v31, v18, 0xbe750f2a, v45
	v_fma_f32 v16, 0x3f116cb1, v47, -v42
	v_add_f32_e32 v41, v48, v41
	s_delay_alu instid0(VALU_DEP_3) | instskip(SKIP_2) | instid1(VALU_DEP_2)
	v_add_f32_e32 v31, v31, v33
	v_fmamk_f32 v33, v47, 0x3f116cb1, v42
	v_mul_f32_e32 v42, 0x3df6dbef, v12
	v_dual_add_f32 v16, v16, v20 :: v_dual_add_f32 v33, v33, v38
	v_fmamk_f32 v38, v18, 0xbf52af12, v14
	v_fmac_f32_e32 v14, 0x3f52af12, v18
	v_fmac_f32_e32 v45, 0x3e750f2a, v18
	v_mul_f32_e32 v18, 0xbf3f9e67, v12
	s_delay_alu instid0(VALU_DEP_4)
	v_add_f32_e32 v38, v38, v44
	v_mul_f32_e32 v44, 0xbf788fa5, v12
	v_add_f32_e32 v37, v37, v40
	v_dual_add_f32 v40, v45, v43 :: v_dual_add_f32 v43, v11, v17
	v_mul_f32_e32 v45, 0xbf29c268, v39
	v_sub_f32_e32 v11, v11, v17
	v_add_f32_e32 v13, v14, v13
	s_delay_alu instid0(VALU_DEP_3) | instskip(SKIP_1) | instid1(VALU_DEP_2)
	v_fmamk_f32 v17, v43, 0xbf3f9e67, v45
	v_fma_f32 v20, 0xbf3f9e67, v43, -v45
	v_dual_add_f32 v14, v17, v15 :: v_dual_fmamk_f32 v15, v11, 0x3f29c268, v18
	v_mul_f32_e32 v17, 0x3f7e222b, v39
	v_fmac_f32_e32 v18, 0xbf29c268, v11
	s_delay_alu instid0(VALU_DEP_4) | instskip(SKIP_2) | instid1(VALU_DEP_4)
	v_add_f32_e32 v20, v20, v26
	v_fmamk_f32 v26, v11, 0xbf7e222b, v42
	v_add_f32_e32 v15, v15, v19
	v_dual_fmamk_f32 v19, v43, 0x3df6dbef, v17 :: v_dual_add_f32 v18, v18, v28
	v_mul_f32_e32 v28, 0xbf52af12, v39
	v_fma_f32 v17, 0x3df6dbef, v43, -v17
	s_delay_alu instid0(VALU_DEP_3) | instskip(SKIP_1) | instid1(VALU_DEP_4)
	v_add_f32_e32 v19, v19, v21
	v_add_f32_e32 v21, v26, v23
	v_fmamk_f32 v23, v43, 0x3f116cb1, v28
	v_fma_f32 v28, 0x3f116cb1, v43, -v28
	v_dual_mul_f32 v26, 0x3f116cb1, v12 :: v_dual_add_f32 v17, v17, v22
	s_delay_alu instid0(VALU_DEP_2)
	v_dual_add_f32 v23, v23, v27 :: v_dual_add_f32 v28, v28, v34
	v_mul_f32_e32 v34, 0x3f62ad3f, v12
	v_mul_f32_e32 v12, 0xbeb58ec6, v12
	v_fmac_f32_e32 v42, 0x3f7e222b, v11
	v_fmamk_f32 v27, v11, 0x3f52af12, v26
	v_fmac_f32_e32 v26, 0xbf52af12, v11
	s_delay_alu instid0(VALU_DEP_3) | instskip(NEXT) | instid1(VALU_DEP_3)
	v_add_f32_e32 v22, v42, v24
	v_dual_mul_f32 v24, 0x3e750f2a, v39 :: v_dual_add_f32 v27, v27, v30
	s_delay_alu instid0(VALU_DEP_3) | instskip(SKIP_2) | instid1(VALU_DEP_4)
	v_add_f32_e32 v26, v26, v29
	v_fmamk_f32 v30, v11, 0xbe750f2a, v44
	v_fmac_f32_e32 v44, 0x3e750f2a, v11
	v_fmamk_f32 v42, v43, 0xbf788fa5, v24
	v_fma_f32 v24, 0xbf788fa5, v43, -v24
	s_delay_alu instid0(VALU_DEP_4) | instskip(NEXT) | instid1(VALU_DEP_3)
	v_add_f32_e32 v30, v30, v35
	v_dual_add_f32 v29, v42, v32 :: v_dual_mul_f32 v32, 0x3eedf032, v39
	s_delay_alu instid0(VALU_DEP_3) | instskip(SKIP_1) | instid1(VALU_DEP_3)
	v_dual_add_f32 v24, v24, v25 :: v_dual_fmamk_f32 v25, v11, 0xbeedf032, v34
	v_fmac_f32_e32 v34, 0x3eedf032, v11
	v_dual_add_f32 v42, v9, v10 :: v_dual_fmamk_f32 v35, v43, 0x3f62ad3f, v32
	v_fma_f32 v32, 0x3f62ad3f, v43, -v32
	s_delay_alu instid0(VALU_DEP_3) | instskip(NEXT) | instid1(VALU_DEP_2)
	v_dual_add_f32 v31, v25, v31 :: v_dual_add_f32 v34, v34, v40
	v_add_f32_e32 v32, v32, v36
	s_delay_alu instid0(VALU_DEP_4) | instskip(SKIP_2) | instid1(VALU_DEP_3)
	v_dual_sub_f32 v36, v9, v10 :: v_dual_add_f32 v35, v35, v37
	v_add_f32_e32 v37, v7, v8
	v_sub_f32_e32 v7, v7, v8
	v_mul_f32_e32 v40, 0xbe750f2a, v36
	s_delay_alu instid0(VALU_DEP_1) | instskip(SKIP_1) | instid1(VALU_DEP_1)
	v_fmamk_f32 v8, v37, 0xbf788fa5, v40
	v_mul_f32_e32 v39, 0xbf6f5d39, v39
	v_fmamk_f32 v25, v43, 0xbeb58ec6, v39
	v_fma_f32 v9, 0xbeb58ec6, v43, -v39
	v_mul_f32_e32 v39, 0xbf788fa5, v42
	s_delay_alu instid0(VALU_DEP_2) | instskip(NEXT) | instid1(VALU_DEP_2)
	v_add_f32_e32 v43, v9, v16
	v_dual_add_f32 v9, v8, v14 :: v_dual_fmamk_f32 v8, v7, 0x3e750f2a, v39
	v_mul_f32_e32 v14, 0x3eedf032, v36
	v_fmac_f32_e32 v39, 0xbe750f2a, v7
	v_dual_mul_f32 v16, 0x3f62ad3f, v42 :: v_dual_add_f32 v33, v25, v33
	v_fmamk_f32 v25, v11, 0x3f6f5d39, v12
	v_fmac_f32_e32 v12, 0xbf6f5d39, v11
	v_add_f32_e32 v10, v8, v15
	v_dual_fmamk_f32 v8, v37, 0x3f62ad3f, v14 :: v_dual_add_f32 v41, v44, v41
	v_fma_f32 v11, 0xbf788fa5, v37, -v40
	s_delay_alu instid0(VALU_DEP_4)
	v_add_f32_e32 v44, v12, v13
	v_add_f32_e32 v12, v39, v18
	v_mul_f32_e32 v18, 0xbf29c268, v36
	v_fmamk_f32 v15, v7, 0xbeedf032, v16
	v_add_f32_e32 v13, v8, v19
	v_fma_f32 v8, 0x3f62ad3f, v37, -v14
	v_dual_add_f32 v38, v25, v38 :: v_dual_add_f32 v11, v11, v20
	v_dual_fmamk_f32 v19, v37, 0xbf3f9e67, v18 :: v_dual_mul_f32 v20, 0xbf3f9e67, v42
	v_fmac_f32_e32 v16, 0x3eedf032, v7
	v_add_f32_e32 v14, v15, v21
	v_dual_add_f32 v15, v8, v17 :: v_dual_mul_f32 v8, 0x3f52af12, v36
	s_delay_alu instid0(VALU_DEP_4)
	v_add_f32_e32 v17, v19, v23
	v_fmamk_f32 v19, v7, 0x3f29c268, v20
	v_fmac_f32_e32 v20, 0xbf29c268, v7
	v_add_f32_e32 v16, v16, v22
	v_fma_f32 v21, 0xbf3f9e67, v37, -v18
	v_dual_fmamk_f32 v22, v37, 0x3f116cb1, v8 :: v_dual_mul_f32 v25, 0x3f116cb1, v42
	s_delay_alu instid0(VALU_DEP_4) | instskip(SKIP_1) | instid1(VALU_DEP_4)
	v_add_f32_e32 v20, v20, v26
	v_mul_f32_e32 v26, 0xbf6f5d39, v36
	v_dual_add_f32 v18, v19, v27 :: v_dual_add_f32 v19, v21, v28
	s_delay_alu instid0(VALU_DEP_4) | instskip(SKIP_3) | instid1(VALU_DEP_4)
	v_dual_add_f32 v21, v22, v29 :: v_dual_fmamk_f32 v22, v7, 0xbf52af12, v25
	v_fma_f32 v8, 0x3f116cb1, v37, -v8
	v_mul_f32_e32 v28, 0xbeb58ec6, v42
	v_fmac_f32_e32 v25, 0x3f52af12, v7
	v_dual_fmamk_f32 v27, v37, 0xbeb58ec6, v26 :: v_dual_add_f32 v22, v22, v30
	s_delay_alu instid0(VALU_DEP_3) | instskip(SKIP_1) | instid1(VALU_DEP_4)
	v_dual_add_f32 v23, v8, v24 :: v_dual_fmamk_f32 v8, v7, 0x3f6f5d39, v28
	v_mul_f32_e32 v30, 0x3f7e222b, v36
	v_add_f32_e32 v24, v25, v41
	v_fma_f32 v29, 0xbeb58ec6, v37, -v26
	v_add_f32_e32 v25, v27, v35
	v_dual_mul_f32 v35, 0x3df6dbef, v42 :: v_dual_add_f32 v26, v8, v31
	v_fmamk_f32 v8, v37, 0x3df6dbef, v30
	s_delay_alu instid0(VALU_DEP_4) | instskip(NEXT) | instid1(VALU_DEP_3)
	v_dual_add_f32 v27, v29, v32 :: v_dual_fmac_f32 v28, 0xbf6f5d39, v7
	v_fmamk_f32 v31, v7, 0xbf7e222b, v35
	v_fma_f32 v32, 0x3df6dbef, v37, -v30
	v_fmac_f32_e32 v35, 0x3f7e222b, v7
	v_add_f32_e32 v29, v8, v33
	v_add_nc_u32_e32 v8, 0xc00, v101
	v_add_nc_u32_e32 v7, 0x1c00, v101
	v_dual_add_f32 v28, v28, v34 :: v_dual_add_nc_u32 v33, 0x400, v101
	v_add_nc_u32_e32 v34, 0x1400, v101
	v_dual_add_f32 v30, v31, v38 :: v_dual_add_f32 v31, v32, v43
	v_dual_add_f32 v32, v35, v44 :: v_dual_add_nc_u32 v35, 0x2400, v101
	ds_store_b64 v101, v[0:1]
	ds_store_b64 v101, v[9:10] offset:952
	ds_store_2addr_b64 v33, v[13:14], v[17:18] offset0:110 offset1:229
	ds_store_2addr_b64 v8, v[21:22], v[25:26] offset0:92 offset1:211
	;; [unrolled: 1-line block ×5, first 2 shown]
	ds_store_b64 v101, v[11:12] offset:11424
	s_waitcnt lgkmcnt(0)
	s_barrier
	buffer_gl0_inv
	s_and_b32 exec_lo, exec_lo, vcc_lo
	s_cbranch_execz .LBB0_23
; %bb.22:
	global_load_b64 v[0:1], v101, s[12:13]
	ds_load_b64 v[9:10], v101
	v_mad_u64_u32 v[13:14], null, s4, v102, 0
	s_mov_b32 s0, 0x152e8015
	s_mov_b32 s1, 0x3f452e80
	s_mul_i32 s2, s5, 0x2d8
	s_mul_i32 s3, s4, 0x2d8
	s_waitcnt vmcnt(0) lgkmcnt(0)
	v_mul_f32_e32 v11, v10, v1
	v_mul_f32_e32 v1, v9, v1
	s_delay_alu instid0(VALU_DEP_2) | instskip(NEXT) | instid1(VALU_DEP_2)
	v_fmac_f32_e32 v11, v9, v0
	v_fma_f32 v9, v0, v10, -v1
	s_delay_alu instid0(VALU_DEP_2) | instskip(NEXT) | instid1(VALU_DEP_2)
	v_cvt_f64_f32_e32 v[0:1], v11
	v_cvt_f64_f32_e32 v[9:10], v9
	v_mad_u64_u32 v[11:12], null, s6, v92, 0
	s_delay_alu instid0(VALU_DEP_3) | instskip(NEXT) | instid1(VALU_DEP_3)
	v_mul_f64 v[0:1], v[0:1], s[0:1]
	v_mul_f64 v[9:10], v[9:10], s[0:1]
	s_delay_alu instid0(VALU_DEP_2) | instskip(NEXT) | instid1(VALU_DEP_2)
	v_cvt_f32_f64_e32 v0, v[0:1]
	v_cvt_f32_f64_e32 v1, v[9:10]
	v_dual_mov_b32 v9, v12 :: v_dual_mov_b32 v10, v14
	s_delay_alu instid0(VALU_DEP_1) | instskip(SKIP_4) | instid1(VALU_DEP_3)
	v_mad_u64_u32 v[14:15], null, s7, v92, v[9:10]
	v_mad_u64_u32 v[15:16], null, s5, v102, v[10:11]
	s_mul_hi_u32 s5, s4, 0x2d8
	v_add_co_u32 v16, s4, s12, v101
	s_add_i32 s2, s5, s2
	v_mov_b32_e32 v12, v14
	v_add_co_ci_u32_e64 v17, null, s13, 0, s4
	s_delay_alu instid0(VALU_DEP_4) | instskip(NEXT) | instid1(VALU_DEP_3)
	v_mov_b32_e32 v14, v15
	v_lshlrev_b64 v[9:10], 3, v[11:12]
	s_delay_alu instid0(VALU_DEP_2) | instskip(NEXT) | instid1(VALU_DEP_2)
	v_lshlrev_b64 v[11:12], 3, v[13:14]
	v_add_co_u32 v9, vcc_lo, s14, v9
	s_delay_alu instid0(VALU_DEP_3) | instskip(NEXT) | instid1(VALU_DEP_2)
	v_add_co_ci_u32_e32 v10, vcc_lo, s15, v10, vcc_lo
	v_add_co_u32 v13, vcc_lo, v9, v11
	s_delay_alu instid0(VALU_DEP_2)
	v_add_co_ci_u32_e32 v14, vcc_lo, v10, v12, vcc_lo
	ds_load_2addr_b64 v[9:12], v101 offset0:91 offset1:182
	global_store_b64 v[13:14], v[0:1], off
	global_load_b64 v[0:1], v101, s[12:13] offset:728
	s_waitcnt vmcnt(0) lgkmcnt(0)
	v_mul_f32_e32 v15, v10, v1
	v_mul_f32_e32 v1, v9, v1
	s_delay_alu instid0(VALU_DEP_2) | instskip(NEXT) | instid1(VALU_DEP_2)
	v_fmac_f32_e32 v15, v9, v0
	v_fma_f32 v9, v0, v10, -v1
	s_delay_alu instid0(VALU_DEP_2) | instskip(NEXT) | instid1(VALU_DEP_2)
	v_cvt_f64_f32_e32 v[0:1], v15
	v_cvt_f64_f32_e32 v[9:10], v9
	s_delay_alu instid0(VALU_DEP_2) | instskip(NEXT) | instid1(VALU_DEP_2)
	v_mul_f64 v[0:1], v[0:1], s[0:1]
	v_mul_f64 v[9:10], v[9:10], s[0:1]
	s_delay_alu instid0(VALU_DEP_2) | instskip(NEXT) | instid1(VALU_DEP_2)
	v_cvt_f32_f64_e32 v0, v[0:1]
	v_cvt_f32_f64_e32 v1, v[9:10]
	v_add_co_u32 v9, vcc_lo, v13, s3
	v_add_co_ci_u32_e32 v10, vcc_lo, s2, v14, vcc_lo
	global_store_b64 v[9:10], v[0:1], off
	global_load_b64 v[0:1], v101, s[12:13] offset:1456
	s_waitcnt vmcnt(0)
	v_mul_f32_e32 v13, v12, v1
	v_mul_f32_e32 v1, v11, v1
	s_delay_alu instid0(VALU_DEP_2) | instskip(NEXT) | instid1(VALU_DEP_2)
	v_fmac_f32_e32 v13, v11, v0
	v_fma_f32 v11, v0, v12, -v1
	s_delay_alu instid0(VALU_DEP_2) | instskip(NEXT) | instid1(VALU_DEP_2)
	v_cvt_f64_f32_e32 v[0:1], v13
	v_cvt_f64_f32_e32 v[11:12], v11
	v_add_co_u32 v13, vcc_lo, v9, s3
	v_add_co_ci_u32_e32 v14, vcc_lo, s2, v10, vcc_lo
	s_delay_alu instid0(VALU_DEP_4) | instskip(NEXT) | instid1(VALU_DEP_4)
	v_mul_f64 v[0:1], v[0:1], s[0:1]
	v_mul_f64 v[11:12], v[11:12], s[0:1]
	s_delay_alu instid0(VALU_DEP_2) | instskip(NEXT) | instid1(VALU_DEP_2)
	v_cvt_f32_f64_e32 v0, v[0:1]
	v_cvt_f32_f64_e32 v1, v[11:12]
	ds_load_2addr_b64 v[9:12], v6 offset0:17 offset1:108
	global_store_b64 v[13:14], v[0:1], off
	global_load_b64 v[0:1], v101, s[12:13] offset:2184
	s_waitcnt vmcnt(0) lgkmcnt(0)
	v_mul_f32_e32 v6, v10, v1
	v_mul_f32_e32 v1, v9, v1
	s_delay_alu instid0(VALU_DEP_2) | instskip(NEXT) | instid1(VALU_DEP_2)
	v_fmac_f32_e32 v6, v9, v0
	v_fma_f32 v9, v0, v10, -v1
	s_delay_alu instid0(VALU_DEP_2) | instskip(NEXT) | instid1(VALU_DEP_2)
	v_cvt_f64_f32_e32 v[0:1], v6
	v_cvt_f64_f32_e32 v[9:10], v9
	s_delay_alu instid0(VALU_DEP_2) | instskip(NEXT) | instid1(VALU_DEP_2)
	v_mul_f64 v[0:1], v[0:1], s[0:1]
	v_mul_f64 v[9:10], v[9:10], s[0:1]
	s_delay_alu instid0(VALU_DEP_2) | instskip(NEXT) | instid1(VALU_DEP_2)
	v_cvt_f32_f64_e32 v0, v[0:1]
	v_cvt_f32_f64_e32 v1, v[9:10]
	v_add_co_u32 v9, vcc_lo, v13, s3
	v_add_co_ci_u32_e32 v10, vcc_lo, s2, v14, vcc_lo
	global_store_b64 v[9:10], v[0:1], off
	global_load_b64 v[0:1], v101, s[12:13] offset:2912
	s_waitcnt vmcnt(0)
	v_mul_f32_e32 v6, v12, v1
	v_mul_f32_e32 v1, v11, v1
	s_delay_alu instid0(VALU_DEP_2) | instskip(NEXT) | instid1(VALU_DEP_2)
	v_fmac_f32_e32 v6, v11, v0
	v_fma_f32 v11, v0, v12, -v1
	s_delay_alu instid0(VALU_DEP_2) | instskip(NEXT) | instid1(VALU_DEP_2)
	v_cvt_f64_f32_e32 v[0:1], v6
	v_cvt_f64_f32_e32 v[11:12], v11
	s_delay_alu instid0(VALU_DEP_2) | instskip(NEXT) | instid1(VALU_DEP_2)
	v_mul_f64 v[0:1], v[0:1], s[0:1]
	v_mul_f64 v[11:12], v[11:12], s[0:1]
	s_delay_alu instid0(VALU_DEP_2) | instskip(NEXT) | instid1(VALU_DEP_2)
	v_cvt_f32_f64_e32 v0, v[0:1]
	v_cvt_f32_f64_e32 v1, v[11:12]
	v_add_co_u32 v12, vcc_lo, v9, s3
	v_add_co_ci_u32_e32 v13, vcc_lo, s2, v10, vcc_lo
	ds_load_2addr_b64 v[8:11], v8 offset0:71 offset1:162
	global_store_b64 v[12:13], v[0:1], off
	global_load_b64 v[0:1], v101, s[12:13] offset:3640
	s_waitcnt vmcnt(0) lgkmcnt(0)
	v_mul_f32_e32 v6, v9, v1
	v_mul_f32_e32 v1, v8, v1
	s_delay_alu instid0(VALU_DEP_2) | instskip(NEXT) | instid1(VALU_DEP_2)
	v_fmac_f32_e32 v6, v8, v0
	v_fma_f32 v8, v0, v9, -v1
	s_delay_alu instid0(VALU_DEP_2) | instskip(NEXT) | instid1(VALU_DEP_2)
	v_cvt_f64_f32_e32 v[0:1], v6
	v_cvt_f64_f32_e32 v[8:9], v8
	s_delay_alu instid0(VALU_DEP_2) | instskip(NEXT) | instid1(VALU_DEP_2)
	v_mul_f64 v[0:1], v[0:1], s[0:1]
	v_mul_f64 v[8:9], v[8:9], s[0:1]
	s_delay_alu instid0(VALU_DEP_2) | instskip(NEXT) | instid1(VALU_DEP_2)
	v_cvt_f32_f64_e32 v0, v[0:1]
	v_cvt_f32_f64_e32 v1, v[8:9]
	v_add_co_u32 v8, vcc_lo, v12, s3
	v_add_co_ci_u32_e32 v9, vcc_lo, s2, v13, vcc_lo
	v_add_co_u32 v12, vcc_lo, 0x1000, v16
	v_add_co_ci_u32_e32 v13, vcc_lo, 0, v17, vcc_lo
	s_delay_alu instid0(VALU_DEP_4) | instskip(NEXT) | instid1(VALU_DEP_4)
	v_add_co_u32 v14, vcc_lo, v8, s3
	v_add_co_ci_u32_e32 v15, vcc_lo, s2, v9, vcc_lo
	global_store_b64 v[8:9], v[0:1], off
	global_load_b64 v[0:1], v[12:13], off offset:272
	s_waitcnt vmcnt(0)
	v_mul_f32_e32 v6, v11, v1
	v_mul_f32_e32 v1, v10, v1
	s_delay_alu instid0(VALU_DEP_2) | instskip(NEXT) | instid1(VALU_DEP_2)
	v_fmac_f32_e32 v6, v10, v0
	v_fma_f32 v10, v0, v11, -v1
	s_delay_alu instid0(VALU_DEP_2) | instskip(NEXT) | instid1(VALU_DEP_2)
	v_cvt_f64_f32_e32 v[0:1], v6
	v_cvt_f64_f32_e32 v[10:11], v10
	s_delay_alu instid0(VALU_DEP_2) | instskip(NEXT) | instid1(VALU_DEP_2)
	v_mul_f64 v[0:1], v[0:1], s[0:1]
	v_mul_f64 v[10:11], v[10:11], s[0:1]
	s_delay_alu instid0(VALU_DEP_2) | instskip(NEXT) | instid1(VALU_DEP_2)
	v_cvt_f32_f64_e32 v0, v[0:1]
	v_cvt_f32_f64_e32 v1, v[10:11]
	ds_load_2addr_b64 v[8:11], v5 offset0:125 offset1:216
	global_store_b64 v[14:15], v[0:1], off
	global_load_b64 v[0:1], v[12:13], off offset:1000
	s_waitcnt vmcnt(0) lgkmcnt(0)
	v_mul_f32_e32 v5, v9, v1
	v_mul_f32_e32 v1, v8, v1
	s_delay_alu instid0(VALU_DEP_2) | instskip(NEXT) | instid1(VALU_DEP_2)
	v_fmac_f32_e32 v5, v8, v0
	v_fma_f32 v6, v0, v9, -v1
	s_delay_alu instid0(VALU_DEP_2) | instskip(NEXT) | instid1(VALU_DEP_2)
	v_cvt_f64_f32_e32 v[0:1], v5
	v_cvt_f64_f32_e32 v[5:6], v6
	s_delay_alu instid0(VALU_DEP_2) | instskip(NEXT) | instid1(VALU_DEP_2)
	v_mul_f64 v[0:1], v[0:1], s[0:1]
	v_mul_f64 v[5:6], v[5:6], s[0:1]
	s_delay_alu instid0(VALU_DEP_2) | instskip(NEXT) | instid1(VALU_DEP_2)
	v_cvt_f32_f64_e32 v0, v[0:1]
	v_cvt_f32_f64_e32 v1, v[5:6]
	v_add_co_u32 v5, vcc_lo, v14, s3
	v_add_co_ci_u32_e32 v6, vcc_lo, s2, v15, vcc_lo
	global_store_b64 v[5:6], v[0:1], off
	global_load_b64 v[0:1], v[12:13], off offset:1728
	v_add_co_u32 v5, vcc_lo, v5, s3
	v_add_co_ci_u32_e32 v6, vcc_lo, s2, v6, vcc_lo
	s_waitcnt vmcnt(0)
	v_mul_f32_e32 v8, v11, v1
	v_mul_f32_e32 v1, v10, v1
	s_delay_alu instid0(VALU_DEP_2) | instskip(NEXT) | instid1(VALU_DEP_2)
	v_fmac_f32_e32 v8, v10, v0
	v_fma_f32 v9, v0, v11, -v1
	s_delay_alu instid0(VALU_DEP_2) | instskip(NEXT) | instid1(VALU_DEP_2)
	v_cvt_f64_f32_e32 v[0:1], v8
	v_cvt_f64_f32_e32 v[8:9], v9
	s_delay_alu instid0(VALU_DEP_2) | instskip(NEXT) | instid1(VALU_DEP_2)
	v_mul_f64 v[0:1], v[0:1], s[0:1]
	v_mul_f64 v[8:9], v[8:9], s[0:1]
	s_delay_alu instid0(VALU_DEP_2) | instskip(NEXT) | instid1(VALU_DEP_2)
	v_cvt_f32_f64_e32 v0, v[0:1]
	v_cvt_f32_f64_e32 v1, v[8:9]
	ds_load_2addr_b64 v[8:11], v4 offset0:51 offset1:142
	global_store_b64 v[5:6], v[0:1], off
	global_load_b64 v[0:1], v[12:13], off offset:2456
	s_waitcnt vmcnt(0) lgkmcnt(0)
	v_mul_f32_e32 v4, v9, v1
	v_mul_f32_e32 v1, v8, v1
	s_delay_alu instid0(VALU_DEP_2) | instskip(NEXT) | instid1(VALU_DEP_2)
	v_fmac_f32_e32 v4, v8, v0
	v_fma_f32 v8, v0, v9, -v1
	s_delay_alu instid0(VALU_DEP_2) | instskip(NEXT) | instid1(VALU_DEP_2)
	v_cvt_f64_f32_e32 v[0:1], v4
	v_cvt_f64_f32_e32 v[8:9], v8
	v_add_co_u32 v4, vcc_lo, v5, s3
	v_add_co_ci_u32_e32 v5, vcc_lo, s2, v6, vcc_lo
	s_delay_alu instid0(VALU_DEP_4) | instskip(NEXT) | instid1(VALU_DEP_4)
	v_mul_f64 v[0:1], v[0:1], s[0:1]
	v_mul_f64 v[8:9], v[8:9], s[0:1]
	s_delay_alu instid0(VALU_DEP_2) | instskip(NEXT) | instid1(VALU_DEP_2)
	v_cvt_f32_f64_e32 v0, v[0:1]
	v_cvt_f32_f64_e32 v1, v[8:9]
	global_store_b64 v[4:5], v[0:1], off
	global_load_b64 v[0:1], v[12:13], off offset:3184
	s_waitcnt vmcnt(0)
	v_mul_f32_e32 v6, v11, v1
	v_mul_f32_e32 v1, v10, v1
	s_delay_alu instid0(VALU_DEP_2) | instskip(NEXT) | instid1(VALU_DEP_2)
	v_fmac_f32_e32 v6, v10, v0
	v_fma_f32 v8, v0, v11, -v1
	s_delay_alu instid0(VALU_DEP_2) | instskip(NEXT) | instid1(VALU_DEP_2)
	v_cvt_f64_f32_e32 v[0:1], v6
	v_cvt_f64_f32_e32 v[8:9], v8
	s_delay_alu instid0(VALU_DEP_2) | instskip(NEXT) | instid1(VALU_DEP_2)
	v_mul_f64 v[0:1], v[0:1], s[0:1]
	v_mul_f64 v[8:9], v[8:9], s[0:1]
	s_delay_alu instid0(VALU_DEP_2) | instskip(NEXT) | instid1(VALU_DEP_2)
	v_cvt_f32_f64_e32 v0, v[0:1]
	v_cvt_f32_f64_e32 v1, v[8:9]
	v_add_co_u32 v8, vcc_lo, v4, s3
	v_add_co_ci_u32_e32 v9, vcc_lo, s2, v5, vcc_lo
	ds_load_2addr_b64 v[4:7], v7 offset0:105 offset1:196
	global_store_b64 v[8:9], v[0:1], off
	global_load_b64 v[0:1], v[12:13], off offset:3912
	s_waitcnt vmcnt(0) lgkmcnt(0)
	v_mul_f32_e32 v10, v5, v1
	v_mul_f32_e32 v1, v4, v1
	s_delay_alu instid0(VALU_DEP_2) | instskip(NEXT) | instid1(VALU_DEP_2)
	v_fmac_f32_e32 v10, v4, v0
	v_fma_f32 v4, v0, v5, -v1
	s_delay_alu instid0(VALU_DEP_2) | instskip(NEXT) | instid1(VALU_DEP_2)
	v_cvt_f64_f32_e32 v[0:1], v10
	v_cvt_f64_f32_e32 v[4:5], v4
	s_delay_alu instid0(VALU_DEP_2) | instskip(NEXT) | instid1(VALU_DEP_2)
	v_mul_f64 v[0:1], v[0:1], s[0:1]
	v_mul_f64 v[4:5], v[4:5], s[0:1]
	s_delay_alu instid0(VALU_DEP_2) | instskip(NEXT) | instid1(VALU_DEP_2)
	v_cvt_f32_f64_e32 v0, v[0:1]
	v_cvt_f32_f64_e32 v1, v[4:5]
	v_add_co_u32 v4, vcc_lo, v8, s3
	v_add_co_ci_u32_e32 v5, vcc_lo, s2, v9, vcc_lo
	v_add_co_u32 v8, vcc_lo, 0x2000, v16
	v_add_co_ci_u32_e32 v9, vcc_lo, 0, v17, vcc_lo
	global_store_b64 v[4:5], v[0:1], off
	global_load_b64 v[0:1], v[8:9], off offset:544
	s_waitcnt vmcnt(0)
	v_mul_f32_e32 v10, v7, v1
	v_mul_f32_e32 v1, v6, v1
	s_delay_alu instid0(VALU_DEP_2) | instskip(NEXT) | instid1(VALU_DEP_2)
	v_fmac_f32_e32 v10, v6, v0
	v_fma_f32 v6, v0, v7, -v1
	s_delay_alu instid0(VALU_DEP_2) | instskip(NEXT) | instid1(VALU_DEP_2)
	v_cvt_f64_f32_e32 v[0:1], v10
	v_cvt_f64_f32_e32 v[6:7], v6
	v_add_co_u32 v10, vcc_lo, v4, s3
	v_add_co_ci_u32_e32 v11, vcc_lo, s2, v5, vcc_lo
	s_delay_alu instid0(VALU_DEP_4) | instskip(NEXT) | instid1(VALU_DEP_4)
	v_mul_f64 v[0:1], v[0:1], s[0:1]
	v_mul_f64 v[6:7], v[6:7], s[0:1]
	s_delay_alu instid0(VALU_DEP_2) | instskip(NEXT) | instid1(VALU_DEP_2)
	v_cvt_f32_f64_e32 v0, v[0:1]
	v_cvt_f32_f64_e32 v1, v[6:7]
	ds_load_2addr_b64 v[3:6], v3 offset0:159 offset1:250
	global_store_b64 v[10:11], v[0:1], off
	global_load_b64 v[0:1], v[8:9], off offset:1272
	s_waitcnt vmcnt(0) lgkmcnt(0)
	v_mul_f32_e32 v7, v4, v1
	v_mul_f32_e32 v1, v3, v1
	s_delay_alu instid0(VALU_DEP_2) | instskip(NEXT) | instid1(VALU_DEP_2)
	v_fmac_f32_e32 v7, v3, v0
	v_fma_f32 v3, v0, v4, -v1
	s_delay_alu instid0(VALU_DEP_2) | instskip(NEXT) | instid1(VALU_DEP_2)
	v_cvt_f64_f32_e32 v[0:1], v7
	v_cvt_f64_f32_e32 v[3:4], v3
	s_delay_alu instid0(VALU_DEP_2) | instskip(NEXT) | instid1(VALU_DEP_2)
	v_mul_f64 v[0:1], v[0:1], s[0:1]
	v_mul_f64 v[3:4], v[3:4], s[0:1]
	s_delay_alu instid0(VALU_DEP_2) | instskip(NEXT) | instid1(VALU_DEP_2)
	v_cvt_f32_f64_e32 v0, v[0:1]
	v_cvt_f32_f64_e32 v1, v[3:4]
	v_add_co_u32 v3, vcc_lo, v10, s3
	v_add_co_ci_u32_e32 v4, vcc_lo, s2, v11, vcc_lo
	global_store_b64 v[3:4], v[0:1], off
	global_load_b64 v[0:1], v[8:9], off offset:2000
	s_waitcnt vmcnt(0)
	v_mul_f32_e32 v7, v6, v1
	v_mul_f32_e32 v1, v5, v1
	s_delay_alu instid0(VALU_DEP_2) | instskip(NEXT) | instid1(VALU_DEP_2)
	v_fmac_f32_e32 v7, v5, v0
	v_fma_f32 v5, v0, v6, -v1
	s_delay_alu instid0(VALU_DEP_2) | instskip(NEXT) | instid1(VALU_DEP_2)
	v_cvt_f64_f32_e32 v[0:1], v7
	v_cvt_f64_f32_e32 v[5:6], v5
	s_delay_alu instid0(VALU_DEP_2) | instskip(NEXT) | instid1(VALU_DEP_2)
	v_mul_f64 v[0:1], v[0:1], s[0:1]
	v_mul_f64 v[5:6], v[5:6], s[0:1]
	s_delay_alu instid0(VALU_DEP_2) | instskip(NEXT) | instid1(VALU_DEP_2)
	v_cvt_f32_f64_e32 v0, v[0:1]
	v_cvt_f32_f64_e32 v1, v[5:6]
	v_add_co_u32 v5, vcc_lo, v3, s3
	v_add_co_ci_u32_e32 v6, vcc_lo, s2, v4, vcc_lo
	global_store_b64 v[5:6], v[0:1], off
	global_load_b64 v[10:11], v[8:9], off offset:2728
	ds_load_2addr_b64 v[0:3], v2 offset0:85 offset1:176
	s_waitcnt vmcnt(0) lgkmcnt(0)
	v_mul_f32_e32 v4, v1, v11
	v_mul_f32_e32 v7, v0, v11
	s_delay_alu instid0(VALU_DEP_2) | instskip(NEXT) | instid1(VALU_DEP_2)
	v_fmac_f32_e32 v4, v0, v10
	v_fma_f32 v7, v10, v1, -v7
	s_delay_alu instid0(VALU_DEP_2) | instskip(NEXT) | instid1(VALU_DEP_2)
	v_cvt_f64_f32_e32 v[0:1], v4
	v_cvt_f64_f32_e32 v[10:11], v7
	v_add_co_u32 v4, vcc_lo, v5, s3
	v_add_co_ci_u32_e32 v5, vcc_lo, s2, v6, vcc_lo
	s_delay_alu instid0(VALU_DEP_4) | instskip(NEXT) | instid1(VALU_DEP_4)
	v_mul_f64 v[0:1], v[0:1], s[0:1]
	v_mul_f64 v[10:11], v[10:11], s[0:1]
	s_delay_alu instid0(VALU_DEP_2) | instskip(NEXT) | instid1(VALU_DEP_2)
	v_cvt_f32_f64_e32 v0, v[0:1]
	v_cvt_f32_f64_e32 v1, v[10:11]
	global_store_b64 v[4:5], v[0:1], off
	global_load_b64 v[0:1], v[8:9], off offset:3456
	s_waitcnt vmcnt(0)
	v_mul_f32_e32 v6, v3, v1
	v_mul_f32_e32 v1, v2, v1
	s_delay_alu instid0(VALU_DEP_2) | instskip(NEXT) | instid1(VALU_DEP_2)
	v_fmac_f32_e32 v6, v2, v0
	v_fma_f32 v2, v0, v3, -v1
	s_delay_alu instid0(VALU_DEP_2) | instskip(NEXT) | instid1(VALU_DEP_2)
	v_cvt_f64_f32_e32 v[0:1], v6
	v_cvt_f64_f32_e32 v[2:3], v2
	s_delay_alu instid0(VALU_DEP_2) | instskip(NEXT) | instid1(VALU_DEP_2)
	v_mul_f64 v[0:1], v[0:1], s[0:1]
	v_mul_f64 v[2:3], v[2:3], s[0:1]
	s_delay_alu instid0(VALU_DEP_2) | instskip(NEXT) | instid1(VALU_DEP_2)
	v_cvt_f32_f64_e32 v0, v[0:1]
	v_cvt_f32_f64_e32 v1, v[2:3]
	v_add_co_u32 v2, vcc_lo, v4, s3
	v_add_co_ci_u32_e32 v3, vcc_lo, s2, v5, vcc_lo
	global_store_b64 v[2:3], v[0:1], off
.LBB0_23:
	s_nop 0
	s_sendmsg sendmsg(MSG_DEALLOC_VGPRS)
	s_endpgm
	.section	.rodata,"a",@progbits
	.p2align	6, 0x0
	.amdhsa_kernel bluestein_single_fwd_len1547_dim1_sp_op_CI_CI
		.amdhsa_group_segment_fixed_size 12376
		.amdhsa_private_segment_fixed_size 0
		.amdhsa_kernarg_size 104
		.amdhsa_user_sgpr_count 15
		.amdhsa_user_sgpr_dispatch_ptr 0
		.amdhsa_user_sgpr_queue_ptr 0
		.amdhsa_user_sgpr_kernarg_segment_ptr 1
		.amdhsa_user_sgpr_dispatch_id 0
		.amdhsa_user_sgpr_private_segment_size 0
		.amdhsa_wavefront_size32 1
		.amdhsa_uses_dynamic_stack 0
		.amdhsa_enable_private_segment 0
		.amdhsa_system_sgpr_workgroup_id_x 1
		.amdhsa_system_sgpr_workgroup_id_y 0
		.amdhsa_system_sgpr_workgroup_id_z 0
		.amdhsa_system_sgpr_workgroup_info 0
		.amdhsa_system_vgpr_workitem_id 0
		.amdhsa_next_free_vgpr 219
		.amdhsa_next_free_sgpr 16
		.amdhsa_reserve_vcc 1
		.amdhsa_float_round_mode_32 0
		.amdhsa_float_round_mode_16_64 0
		.amdhsa_float_denorm_mode_32 3
		.amdhsa_float_denorm_mode_16_64 3
		.amdhsa_dx10_clamp 1
		.amdhsa_ieee_mode 1
		.amdhsa_fp16_overflow 0
		.amdhsa_workgroup_processor_mode 1
		.amdhsa_memory_ordered 1
		.amdhsa_forward_progress 0
		.amdhsa_shared_vgpr_count 0
		.amdhsa_exception_fp_ieee_invalid_op 0
		.amdhsa_exception_fp_denorm_src 0
		.amdhsa_exception_fp_ieee_div_zero 0
		.amdhsa_exception_fp_ieee_overflow 0
		.amdhsa_exception_fp_ieee_underflow 0
		.amdhsa_exception_fp_ieee_inexact 0
		.amdhsa_exception_int_div_zero 0
	.end_amdhsa_kernel
	.text
.Lfunc_end0:
	.size	bluestein_single_fwd_len1547_dim1_sp_op_CI_CI, .Lfunc_end0-bluestein_single_fwd_len1547_dim1_sp_op_CI_CI
                                        ; -- End function
	.section	.AMDGPU.csdata,"",@progbits
; Kernel info:
; codeLenInByte = 25328
; NumSgprs: 18
; NumVgprs: 219
; ScratchSize: 0
; MemoryBound: 0
; FloatMode: 240
; IeeeMode: 1
; LDSByteSize: 12376 bytes/workgroup (compile time only)
; SGPRBlocks: 2
; VGPRBlocks: 27
; NumSGPRsForWavesPerEU: 18
; NumVGPRsForWavesPerEU: 219
; Occupancy: 6
; WaveLimiterHint : 1
; COMPUTE_PGM_RSRC2:SCRATCH_EN: 0
; COMPUTE_PGM_RSRC2:USER_SGPR: 15
; COMPUTE_PGM_RSRC2:TRAP_HANDLER: 0
; COMPUTE_PGM_RSRC2:TGID_X_EN: 1
; COMPUTE_PGM_RSRC2:TGID_Y_EN: 0
; COMPUTE_PGM_RSRC2:TGID_Z_EN: 0
; COMPUTE_PGM_RSRC2:TIDIG_COMP_CNT: 0
	.text
	.p2alignl 7, 3214868480
	.fill 96, 4, 3214868480
	.type	__hip_cuid_34aca1d89ff1a5a1,@object ; @__hip_cuid_34aca1d89ff1a5a1
	.section	.bss,"aw",@nobits
	.globl	__hip_cuid_34aca1d89ff1a5a1
__hip_cuid_34aca1d89ff1a5a1:
	.byte	0                               ; 0x0
	.size	__hip_cuid_34aca1d89ff1a5a1, 1

	.ident	"AMD clang version 19.0.0git (https://github.com/RadeonOpenCompute/llvm-project roc-6.4.0 25133 c7fe45cf4b819c5991fe208aaa96edf142730f1d)"
	.section	".note.GNU-stack","",@progbits
	.addrsig
	.addrsig_sym __hip_cuid_34aca1d89ff1a5a1
	.amdgpu_metadata
---
amdhsa.kernels:
  - .args:
      - .actual_access:  read_only
        .address_space:  global
        .offset:         0
        .size:           8
        .value_kind:     global_buffer
      - .actual_access:  read_only
        .address_space:  global
        .offset:         8
        .size:           8
        .value_kind:     global_buffer
      - .actual_access:  read_only
        .address_space:  global
        .offset:         16
        .size:           8
        .value_kind:     global_buffer
      - .actual_access:  read_only
        .address_space:  global
        .offset:         24
        .size:           8
        .value_kind:     global_buffer
      - .actual_access:  read_only
        .address_space:  global
        .offset:         32
        .size:           8
        .value_kind:     global_buffer
      - .offset:         40
        .size:           8
        .value_kind:     by_value
      - .address_space:  global
        .offset:         48
        .size:           8
        .value_kind:     global_buffer
      - .address_space:  global
        .offset:         56
        .size:           8
        .value_kind:     global_buffer
      - .address_space:  global
        .offset:         64
        .size:           8
        .value_kind:     global_buffer
      - .address_space:  global
        .offset:         72
        .size:           8
        .value_kind:     global_buffer
      - .offset:         80
        .size:           4
        .value_kind:     by_value
      - .address_space:  global
        .offset:         88
        .size:           8
        .value_kind:     global_buffer
      - .address_space:  global
        .offset:         96
        .size:           8
        .value_kind:     global_buffer
    .group_segment_fixed_size: 12376
    .kernarg_segment_align: 8
    .kernarg_segment_size: 104
    .language:       OpenCL C
    .language_version:
      - 2
      - 0
    .max_flat_workgroup_size: 119
    .name:           bluestein_single_fwd_len1547_dim1_sp_op_CI_CI
    .private_segment_fixed_size: 0
    .sgpr_count:     18
    .sgpr_spill_count: 0
    .symbol:         bluestein_single_fwd_len1547_dim1_sp_op_CI_CI.kd
    .uniform_work_group_size: 1
    .uses_dynamic_stack: false
    .vgpr_count:     219
    .vgpr_spill_count: 0
    .wavefront_size: 32
    .workgroup_processor_mode: 1
amdhsa.target:   amdgcn-amd-amdhsa--gfx1100
amdhsa.version:
  - 1
  - 2
...

	.end_amdgpu_metadata
